;; amdgpu-corpus repo=ROCm/rocFFT kind=compiled arch=gfx1201 opt=O3
	.text
	.amdgcn_target "amdgcn-amd-amdhsa--gfx1201"
	.amdhsa_code_object_version 6
	.protected	fft_rtc_back_len3200_factors_10_10_4_4_2_wgs_160_tpt_160_halfLds_half_op_CI_CI_unitstride_sbrr_R2C_dirReg ; -- Begin function fft_rtc_back_len3200_factors_10_10_4_4_2_wgs_160_tpt_160_halfLds_half_op_CI_CI_unitstride_sbrr_R2C_dirReg
	.globl	fft_rtc_back_len3200_factors_10_10_4_4_2_wgs_160_tpt_160_halfLds_half_op_CI_CI_unitstride_sbrr_R2C_dirReg
	.p2align	8
	.type	fft_rtc_back_len3200_factors_10_10_4_4_2_wgs_160_tpt_160_halfLds_half_op_CI_CI_unitstride_sbrr_R2C_dirReg,@function
fft_rtc_back_len3200_factors_10_10_4_4_2_wgs_160_tpt_160_halfLds_half_op_CI_CI_unitstride_sbrr_R2C_dirReg: ; @fft_rtc_back_len3200_factors_10_10_4_4_2_wgs_160_tpt_160_halfLds_half_op_CI_CI_unitstride_sbrr_R2C_dirReg
; %bb.0:
	s_clause 0x2
	s_load_b128 s[8:11], s[0:1], 0x0
	s_load_b128 s[4:7], s[0:1], 0x58
	;; [unrolled: 1-line block ×3, first 2 shown]
	v_mul_u32_u24_e32 v1, 0x19a, v0
	v_mov_b32_e32 v3, 0
	v_mov_b32_e32 v25, 0
	;; [unrolled: 1-line block ×3, first 2 shown]
	s_delay_alu instid0(VALU_DEP_4) | instskip(NEXT) | instid1(VALU_DEP_1)
	v_lshrrev_b32_e32 v1, 16, v1
	v_dual_mov_b32 v8, v3 :: v_dual_add_nc_u32 v7, ttmp9, v1
	s_wait_kmcnt 0x0
	v_cmp_lt_u64_e64 s2, s[10:11], 2
	s_delay_alu instid0(VALU_DEP_1)
	s_and_b32 vcc_lo, exec_lo, s2
	s_cbranch_vccnz .LBB0_8
; %bb.1:
	s_load_b64 s[2:3], s[0:1], 0x10
	v_mov_b32_e32 v25, 0
	v_mov_b32_e32 v26, 0
	s_delay_alu instid0(VALU_DEP_2)
	v_mov_b32_e32 v1, v25
	s_add_nc_u64 s[16:17], s[14:15], 8
	s_add_nc_u64 s[18:19], s[12:13], 8
	s_mov_b64 s[20:21], 1
	v_mov_b32_e32 v2, v26
	s_wait_kmcnt 0x0
	s_add_nc_u64 s[22:23], s[2:3], 8
	s_mov_b32 s3, 0
.LBB0_2:                                ; =>This Inner Loop Header: Depth=1
	s_load_b64 s[24:25], s[22:23], 0x0
                                        ; implicit-def: $vgpr5_vgpr6
	s_mov_b32 s2, exec_lo
	s_wait_kmcnt 0x0
	v_or_b32_e32 v4, s25, v8
	s_delay_alu instid0(VALU_DEP_1)
	v_cmpx_ne_u64_e32 0, v[3:4]
	s_wait_alu 0xfffe
	s_xor_b32 s26, exec_lo, s2
	s_cbranch_execz .LBB0_4
; %bb.3:                                ;   in Loop: Header=BB0_2 Depth=1
	s_cvt_f32_u32 s2, s24
	s_cvt_f32_u32 s27, s25
	s_sub_nc_u64 s[30:31], 0, s[24:25]
	s_wait_alu 0xfffe
	s_delay_alu instid0(SALU_CYCLE_1) | instskip(SKIP_1) | instid1(SALU_CYCLE_2)
	s_fmamk_f32 s2, s27, 0x4f800000, s2
	s_wait_alu 0xfffe
	v_s_rcp_f32 s2, s2
	s_delay_alu instid0(TRANS32_DEP_1) | instskip(SKIP_1) | instid1(SALU_CYCLE_2)
	s_mul_f32 s2, s2, 0x5f7ffffc
	s_wait_alu 0xfffe
	s_mul_f32 s27, s2, 0x2f800000
	s_wait_alu 0xfffe
	s_delay_alu instid0(SALU_CYCLE_2) | instskip(SKIP_1) | instid1(SALU_CYCLE_2)
	s_trunc_f32 s27, s27
	s_wait_alu 0xfffe
	s_fmamk_f32 s2, s27, 0xcf800000, s2
	s_cvt_u32_f32 s29, s27
	s_wait_alu 0xfffe
	s_delay_alu instid0(SALU_CYCLE_1) | instskip(SKIP_1) | instid1(SALU_CYCLE_2)
	s_cvt_u32_f32 s28, s2
	s_wait_alu 0xfffe
	s_mul_u64 s[34:35], s[30:31], s[28:29]
	s_wait_alu 0xfffe
	s_mul_hi_u32 s37, s28, s35
	s_mul_i32 s36, s28, s35
	s_mul_hi_u32 s2, s28, s34
	s_mul_i32 s33, s29, s34
	s_wait_alu 0xfffe
	s_add_nc_u64 s[36:37], s[2:3], s[36:37]
	s_mul_hi_u32 s27, s29, s34
	s_mul_hi_u32 s38, s29, s35
	s_add_co_u32 s2, s36, s33
	s_wait_alu 0xfffe
	s_add_co_ci_u32 s2, s37, s27
	s_mul_i32 s34, s29, s35
	s_add_co_ci_u32 s35, s38, 0
	s_wait_alu 0xfffe
	s_add_nc_u64 s[34:35], s[2:3], s[34:35]
	s_wait_alu 0xfffe
	v_add_co_u32 v4, s2, s28, s34
	s_delay_alu instid0(VALU_DEP_1) | instskip(SKIP_1) | instid1(VALU_DEP_1)
	s_cmp_lg_u32 s2, 0
	s_add_co_ci_u32 s29, s29, s35
	v_readfirstlane_b32 s28, v4
	s_wait_alu 0xfffe
	s_delay_alu instid0(VALU_DEP_1)
	s_mul_u64 s[30:31], s[30:31], s[28:29]
	s_wait_alu 0xfffe
	s_mul_hi_u32 s35, s28, s31
	s_mul_i32 s34, s28, s31
	s_mul_hi_u32 s2, s28, s30
	s_mul_i32 s33, s29, s30
	s_wait_alu 0xfffe
	s_add_nc_u64 s[34:35], s[2:3], s[34:35]
	s_mul_hi_u32 s27, s29, s30
	s_mul_hi_u32 s28, s29, s31
	s_wait_alu 0xfffe
	s_add_co_u32 s2, s34, s33
	s_add_co_ci_u32 s2, s35, s27
	s_mul_i32 s30, s29, s31
	s_add_co_ci_u32 s31, s28, 0
	s_wait_alu 0xfffe
	s_add_nc_u64 s[30:31], s[2:3], s[30:31]
	s_wait_alu 0xfffe
	v_add_co_u32 v6, s2, v4, s30
	s_delay_alu instid0(VALU_DEP_1) | instskip(SKIP_1) | instid1(VALU_DEP_1)
	s_cmp_lg_u32 s2, 0
	s_add_co_ci_u32 s2, s29, s31
	v_mul_hi_u32 v13, v7, v6
	s_wait_alu 0xfffe
	v_mad_co_u64_u32 v[4:5], null, v7, s2, 0
	v_mad_co_u64_u32 v[9:10], null, v8, v6, 0
	;; [unrolled: 1-line block ×3, first 2 shown]
	s_delay_alu instid0(VALU_DEP_3) | instskip(SKIP_1) | instid1(VALU_DEP_4)
	v_add_co_u32 v4, vcc_lo, v13, v4
	s_wait_alu 0xfffd
	v_add_co_ci_u32_e32 v5, vcc_lo, 0, v5, vcc_lo
	s_delay_alu instid0(VALU_DEP_2) | instskip(SKIP_1) | instid1(VALU_DEP_2)
	v_add_co_u32 v4, vcc_lo, v4, v9
	s_wait_alu 0xfffd
	v_add_co_ci_u32_e32 v4, vcc_lo, v5, v10, vcc_lo
	s_wait_alu 0xfffd
	v_add_co_ci_u32_e32 v5, vcc_lo, 0, v12, vcc_lo
	s_delay_alu instid0(VALU_DEP_2) | instskip(SKIP_1) | instid1(VALU_DEP_2)
	v_add_co_u32 v9, vcc_lo, v4, v11
	s_wait_alu 0xfffd
	v_add_co_ci_u32_e32 v6, vcc_lo, 0, v5, vcc_lo
	s_delay_alu instid0(VALU_DEP_2) | instskip(SKIP_1) | instid1(VALU_DEP_3)
	v_mul_lo_u32 v10, s25, v9
	v_mad_co_u64_u32 v[4:5], null, s24, v9, 0
	v_mul_lo_u32 v11, s24, v6
	s_delay_alu instid0(VALU_DEP_2) | instskip(NEXT) | instid1(VALU_DEP_2)
	v_sub_co_u32 v4, vcc_lo, v7, v4
	v_add3_u32 v5, v5, v11, v10
	s_delay_alu instid0(VALU_DEP_1) | instskip(SKIP_1) | instid1(VALU_DEP_1)
	v_sub_nc_u32_e32 v10, v8, v5
	s_wait_alu 0xfffd
	v_subrev_co_ci_u32_e64 v10, s2, s25, v10, vcc_lo
	v_add_co_u32 v11, s2, v9, 2
	s_wait_alu 0xf1ff
	v_add_co_ci_u32_e64 v12, s2, 0, v6, s2
	v_sub_co_u32 v13, s2, v4, s24
	v_sub_co_ci_u32_e32 v5, vcc_lo, v8, v5, vcc_lo
	s_wait_alu 0xf1ff
	v_subrev_co_ci_u32_e64 v10, s2, 0, v10, s2
	s_delay_alu instid0(VALU_DEP_3) | instskip(NEXT) | instid1(VALU_DEP_3)
	v_cmp_le_u32_e32 vcc_lo, s24, v13
	v_cmp_eq_u32_e64 s2, s25, v5
	s_wait_alu 0xfffd
	v_cndmask_b32_e64 v13, 0, -1, vcc_lo
	v_cmp_le_u32_e32 vcc_lo, s25, v10
	s_wait_alu 0xfffd
	v_cndmask_b32_e64 v14, 0, -1, vcc_lo
	v_cmp_le_u32_e32 vcc_lo, s24, v4
	;; [unrolled: 3-line block ×3, first 2 shown]
	s_wait_alu 0xfffd
	v_cndmask_b32_e64 v15, 0, -1, vcc_lo
	v_cmp_eq_u32_e32 vcc_lo, s25, v10
	s_wait_alu 0xf1ff
	s_delay_alu instid0(VALU_DEP_2)
	v_cndmask_b32_e64 v4, v15, v4, s2
	s_wait_alu 0xfffd
	v_cndmask_b32_e32 v10, v14, v13, vcc_lo
	v_add_co_u32 v13, vcc_lo, v9, 1
	s_wait_alu 0xfffd
	v_add_co_ci_u32_e32 v14, vcc_lo, 0, v6, vcc_lo
	s_delay_alu instid0(VALU_DEP_3) | instskip(SKIP_1) | instid1(VALU_DEP_2)
	v_cmp_ne_u32_e32 vcc_lo, 0, v10
	s_wait_alu 0xfffd
	v_dual_cndmask_b32 v5, v14, v12 :: v_dual_cndmask_b32 v10, v13, v11
	v_cmp_ne_u32_e32 vcc_lo, 0, v4
	s_wait_alu 0xfffd
	s_delay_alu instid0(VALU_DEP_2)
	v_dual_cndmask_b32 v6, v6, v5 :: v_dual_cndmask_b32 v5, v9, v10
.LBB0_4:                                ;   in Loop: Header=BB0_2 Depth=1
	s_wait_alu 0xfffe
	s_and_not1_saveexec_b32 s2, s26
	s_cbranch_execz .LBB0_6
; %bb.5:                                ;   in Loop: Header=BB0_2 Depth=1
	v_cvt_f32_u32_e32 v4, s24
	s_sub_co_i32 s26, 0, s24
	s_delay_alu instid0(VALU_DEP_1) | instskip(NEXT) | instid1(TRANS32_DEP_1)
	v_rcp_iflag_f32_e32 v4, v4
	v_mul_f32_e32 v4, 0x4f7ffffe, v4
	s_delay_alu instid0(VALU_DEP_1) | instskip(SKIP_1) | instid1(VALU_DEP_1)
	v_cvt_u32_f32_e32 v4, v4
	s_wait_alu 0xfffe
	v_mul_lo_u32 v5, s26, v4
	s_delay_alu instid0(VALU_DEP_1) | instskip(NEXT) | instid1(VALU_DEP_1)
	v_mul_hi_u32 v5, v4, v5
	v_add_nc_u32_e32 v4, v4, v5
	s_delay_alu instid0(VALU_DEP_1) | instskip(NEXT) | instid1(VALU_DEP_1)
	v_mul_hi_u32 v4, v7, v4
	v_mul_lo_u32 v5, v4, s24
	v_add_nc_u32_e32 v6, 1, v4
	s_delay_alu instid0(VALU_DEP_2) | instskip(NEXT) | instid1(VALU_DEP_1)
	v_sub_nc_u32_e32 v5, v7, v5
	v_subrev_nc_u32_e32 v9, s24, v5
	v_cmp_le_u32_e32 vcc_lo, s24, v5
	s_wait_alu 0xfffd
	s_delay_alu instid0(VALU_DEP_2) | instskip(NEXT) | instid1(VALU_DEP_1)
	v_dual_cndmask_b32 v5, v5, v9 :: v_dual_cndmask_b32 v4, v4, v6
	v_cmp_le_u32_e32 vcc_lo, s24, v5
	s_delay_alu instid0(VALU_DEP_2) | instskip(SKIP_1) | instid1(VALU_DEP_1)
	v_add_nc_u32_e32 v6, 1, v4
	s_wait_alu 0xfffd
	v_dual_cndmask_b32 v5, v4, v6 :: v_dual_mov_b32 v6, v3
.LBB0_6:                                ;   in Loop: Header=BB0_2 Depth=1
	s_wait_alu 0xfffe
	s_or_b32 exec_lo, exec_lo, s2
	s_delay_alu instid0(VALU_DEP_1) | instskip(NEXT) | instid1(VALU_DEP_2)
	v_mul_lo_u32 v4, v6, s24
	v_mul_lo_u32 v11, v5, s25
	s_load_b64 s[26:27], s[18:19], 0x0
	v_mad_co_u64_u32 v[9:10], null, v5, s24, 0
	s_load_b64 s[24:25], s[16:17], 0x0
	s_add_nc_u64 s[20:21], s[20:21], 1
	s_add_nc_u64 s[16:17], s[16:17], 8
	s_wait_alu 0xfffe
	v_cmp_ge_u64_e64 s2, s[20:21], s[10:11]
	s_add_nc_u64 s[18:19], s[18:19], 8
	s_add_nc_u64 s[22:23], s[22:23], 8
	v_add3_u32 v4, v10, v11, v4
	v_sub_co_u32 v7, vcc_lo, v7, v9
	s_wait_alu 0xfffd
	s_delay_alu instid0(VALU_DEP_2) | instskip(SKIP_2) | instid1(VALU_DEP_1)
	v_sub_co_ci_u32_e32 v4, vcc_lo, v8, v4, vcc_lo
	s_and_b32 vcc_lo, exec_lo, s2
	s_wait_kmcnt 0x0
	v_mul_lo_u32 v8, s26, v4
	v_mul_lo_u32 v9, s27, v7
	v_mad_co_u64_u32 v[25:26], null, s26, v7, v[25:26]
	v_mul_lo_u32 v4, s24, v4
	v_mul_lo_u32 v10, s25, v7
	v_mad_co_u64_u32 v[1:2], null, s24, v7, v[1:2]
	s_delay_alu instid0(VALU_DEP_4) | instskip(NEXT) | instid1(VALU_DEP_2)
	v_add3_u32 v26, v9, v26, v8
	v_add3_u32 v2, v10, v2, v4
	s_wait_alu 0xfffe
	s_cbranch_vccnz .LBB0_9
; %bb.7:                                ;   in Loop: Header=BB0_2 Depth=1
	v_dual_mov_b32 v8, v6 :: v_dual_mov_b32 v7, v5
	s_branch .LBB0_2
.LBB0_8:
	v_dual_mov_b32 v1, v25 :: v_dual_mov_b32 v2, v26
	v_dual_mov_b32 v5, v7 :: v_dual_mov_b32 v6, v8
.LBB0_9:
	s_load_b64 s[0:1], s[0:1], 0x28
	v_mul_hi_u32 v27, 0x199999a, v0
	s_lshl_b64 s[10:11], s[10:11], 3
                                        ; implicit-def: $vgpr3
                                        ; implicit-def: $vgpr7
                                        ; implicit-def: $vgpr21
                                        ; implicit-def: $vgpr11
                                        ; implicit-def: $vgpr17
                                        ; implicit-def: $vgpr23
                                        ; implicit-def: $vgpr19
                                        ; implicit-def: $vgpr13
                                        ; implicit-def: $vgpr9
                                        ; implicit-def: $vgpr15
	s_wait_kmcnt 0x0
	v_cmp_gt_u64_e32 vcc_lo, s[0:1], v[5:6]
	v_cmp_le_u64_e64 s0, s[0:1], v[5:6]
	s_delay_alu instid0(VALU_DEP_1)
	s_and_saveexec_b32 s1, s0
	s_wait_alu 0xfffe
	s_xor_b32 s0, exec_lo, s1
	s_cbranch_execz .LBB0_11
; %bb.10:
	v_mul_u32_u24_e32 v3, 0xa0, v27
                                        ; implicit-def: $vgpr27
                                        ; implicit-def: $vgpr25_vgpr26
	s_delay_alu instid0(VALU_DEP_1) | instskip(SKIP_1) | instid1(VALU_DEP_2)
	v_sub_nc_u32_e32 v3, v0, v3
	v_mov_b32_e32 v4, 0
                                        ; implicit-def: $vgpr0
	v_add_nc_u32_e32 v7, 0xa0, v3
	s_delay_alu instid0(VALU_DEP_2)
	v_dual_mov_b32 v8, v4 :: v_dual_add_nc_u32 v21, 0x140, v3
	v_dual_mov_b32 v22, v4 :: v_dual_add_nc_u32 v11, 0x280, v3
	;; [unrolled: 1-line block ×3, first 2 shown]
	v_or_b32_e32 v23, 0x500, v3
	v_dual_mov_b32 v12, v4 :: v_dual_add_nc_u32 v19, 0x320, v3
	v_dual_mov_b32 v20, v4 :: v_dual_add_nc_u32 v13, 0x1e0, v3
	v_dual_mov_b32 v18, v4 :: v_dual_add_nc_u32 v9, 0x460, v3
	v_dual_mov_b32 v10, v4 :: v_dual_add_nc_u32 v15, 0x5a0, v3
	v_mov_b32_e32 v24, v4
	v_mov_b32_e32 v16, v4
.LBB0_11:
	s_wait_alu 0xfffe
	s_or_saveexec_b32 s1, s0
	s_add_nc_u64 s[2:3], s[14:15], s[10:11]
	s_wait_alu 0xfffe
	s_xor_b32 exec_lo, exec_lo, s1
	s_cbranch_execz .LBB0_13
; %bb.12:
	s_add_nc_u64 s[10:11], s[12:13], s[10:11]
	v_mul_u32_u24_e32 v11, 0xa0, v27
	s_load_b64 s[10:11], s[10:11], 0x0
	v_lshlrev_b64_e32 v[9:10], 2, v[25:26]
	s_wait_kmcnt 0x0
	v_mul_lo_u32 v7, s11, v5
	v_mul_lo_u32 v8, s10, v6
	v_mad_co_u64_u32 v[3:4], null, s10, v5, 0
	s_delay_alu instid0(VALU_DEP_1) | instskip(NEXT) | instid1(VALU_DEP_1)
	v_add3_u32 v4, v4, v8, v7
	v_lshlrev_b64_e32 v[7:8], 2, v[3:4]
	v_sub_nc_u32_e32 v3, v0, v11
	s_delay_alu instid0(VALU_DEP_1) | instskip(NEXT) | instid1(VALU_DEP_3)
	v_lshlrev_b32_e32 v15, 2, v3
	v_add_co_u32 v0, s0, s4, v7
	s_wait_alu 0xf1ff
	s_delay_alu instid0(VALU_DEP_4) | instskip(SKIP_1) | instid1(VALU_DEP_3)
	v_add_co_ci_u32_e64 v4, s0, s5, v8, s0
	v_or_b32_e32 v23, 0x500, v3
	v_add_co_u32 v0, s0, v0, v9
	s_wait_alu 0xf1ff
	s_delay_alu instid0(VALU_DEP_3) | instskip(SKIP_1) | instid1(VALU_DEP_3)
	v_add_co_ci_u32_e64 v4, s0, v4, v10, s0
	v_add_nc_u32_e32 v21, 0x140, v3
	v_add_co_u32 v7, s0, v0, v15
	s_wait_alu 0xf1ff
	s_delay_alu instid0(VALU_DEP_3)
	v_add_co_ci_u32_e64 v8, s0, 0, v4, s0
	v_mov_b32_e32 v4, 0
	s_clause 0x13
	global_load_b32 v0, v[7:8], off
	global_load_b32 v25, v[7:8], off offset:640
	global_load_b32 v26, v[7:8], off offset:1280
	;; [unrolled: 1-line block ×19, first 2 shown]
	v_add_nc_u32_e32 v44, 0, v15
	v_dual_mov_b32 v8, v4 :: v_dual_add_nc_u32 v7, 0xa0, v3
	v_mov_b32_e32 v22, v4
	v_dual_mov_b32 v14, v4 :: v_dual_add_nc_u32 v13, 0x1e0, v3
	v_dual_mov_b32 v12, v4 :: v_dual_add_nc_u32 v11, 0x280, v3
	;; [unrolled: 1-line block ×7, first 2 shown]
	v_add_nc_u32_e32 v46, 0xa00, v44
	v_add_nc_u32_e32 v47, 0xe00, v44
	;; [unrolled: 1-line block ×8, first 2 shown]
	s_wait_loadcnt 0x12
	ds_store_2addr_b32 v44, v0, v25 offset1:160
	s_wait_loadcnt 0x10
	ds_store_2addr_b32 v45, v26, v27 offset0:64 offset1:224
	s_wait_loadcnt 0xe
	ds_store_2addr_b32 v46, v28, v29 offset1:160
	s_wait_loadcnt 0xc
	ds_store_2addr_b32 v47, v30, v31 offset0:64 offset1:224
	;; [unrolled: 4-line block ×5, first 2 shown]
.LBB0_13:
	s_or_b32 exec_lo, exec_lo, s1
	v_lshlrev_b32_e32 v36, 2, v3
	s_load_b64 s[2:3], s[2:3], 0x0
	global_wb scope:SCOPE_SE
	s_wait_dscnt 0x0
	s_wait_kmcnt 0x0
	s_barrier_signal -1
	s_barrier_wait -1
	v_add_nc_u32_e32 v0, 0, v36
	global_inv scope:SCOPE_SE
	v_mul_i32_i24_e32 v25, 10, v7
	v_cmp_gt_u32_e64 s0, 0x64, v3
	v_add_nc_u32_e32 v26, 0x1400, v0
	v_add_nc_u32_e32 v38, 0x1e00, v0
	;; [unrolled: 1-line block ×4, first 2 shown]
	ds_load_2addr_b32 v[44:45], v0 offset1:160
	ds_load_2addr_b32 v[46:47], v26 offset1:160
	;; [unrolled: 1-line block ×5, first 2 shown]
	v_lshl_add_u32 v35, v25, 2, 0
	v_add_nc_u32_e32 v25, 0x400, v0
	v_add_nc_u32_e32 v26, 0xe00, v0
	;; [unrolled: 1-line block ×5, first 2 shown]
	ds_load_2addr_b32 v[31:32], v25 offset0:64 offset1:224
	ds_load_2addr_b32 v[33:34], v26 offset0:64 offset1:224
	;; [unrolled: 1-line block ×5, first 2 shown]
	v_mad_u32_u24 v39, v3, 36, v0
	global_wb scope:SCOPE_SE
	s_wait_dscnt 0x0
	s_barrier_signal -1
	s_barrier_wait -1
	global_inv scope:SCOPE_SE
	v_lshrrev_b32_e32 v54, 16, v45
	v_lshrrev_b32_e32 v57, 16, v47
	v_add_f16_e32 v43, v47, v49
	v_lshrrev_b32_e32 v55, 16, v51
	v_lshrrev_b32_e32 v56, 16, v53
	;; [unrolled: 1-line block ×3, first 2 shown]
	v_add_f16_e32 v61, v51, v53
	v_fma_f16 v63, -0.5, v43, v45
	v_sub_f16_e32 v59, v53, v49
	v_sub_f16_e32 v43, v55, v56
	;; [unrolled: 1-line block ×6, first 2 shown]
	v_fma_f16 v61, -0.5, v61, v45
	v_pk_add_f16 v45, v45, v51
	v_fmamk_f16 v66, v43, 0xbb9c, v63
	v_fmac_f16_e32 v63, 0x3b9c, v43
	v_add_f16_e32 v67, v57, v58
	v_add_f16_e32 v59, v60, v59
	v_fmamk_f16 v60, v65, 0x3b9c, v61
	v_fmac_f16_e32 v66, 0xb8b4, v65
	v_add_f16_e32 v62, v64, v62
	v_fmac_f16_e32 v63, 0x38b4, v65
	v_fma_f16 v64, -0.5, v67, v54
	v_sub_f16_e32 v51, v51, v53
	v_fmac_f16_e32 v61, 0xbb9c, v65
	v_pk_add_f16 v45, v45, v47
	v_fmac_f16_e32 v60, 0xb8b4, v43
	v_fmac_f16_e32 v66, 0x34f2, v59
	;; [unrolled: 1-line block ×3, first 2 shown]
	v_fmamk_f16 v59, v51, 0x3b9c, v64
	v_sub_f16_e32 v47, v47, v49
	v_sub_f16_e32 v65, v55, v57
	;; [unrolled: 1-line block ×3, first 2 shown]
	v_fmac_f16_e32 v61, 0x38b4, v43
	v_fmac_f16_e32 v64, 0xbb9c, v51
	v_pk_add_f16 v43, v45, v49
	v_add_f16_e32 v49, v55, v56
	v_fmac_f16_e32 v59, 0x38b4, v47
	v_add_f16_e32 v45, v65, v67
	v_fmac_f16_e32 v64, 0xb8b4, v47
	v_fmac_f16_e32 v60, 0x34f2, v62
	v_fmac_f16_e32 v54, -0.5, v49
	v_fmac_f16_e32 v61, 0x34f2, v62
	v_pk_add_f16 v43, v43, v53
	v_fmac_f16_e32 v59, 0x34f2, v45
	v_fmac_f16_e32 v64, 0x34f2, v45
	v_add_f16_e32 v45, v30, v28
	v_lshrrev_b32_e32 v49, 16, v34
	v_lshrrev_b32_e32 v53, 16, v26
	v_fmamk_f16 v62, v47, 0xbb9c, v54
	v_fmac_f16_e32 v54, 0x3b9c, v47
	v_sub_f16_e32 v55, v57, v55
	v_sub_f16_e32 v56, v58, v56
	v_fma_f16 v45, -0.5, v45, v32
	v_sub_f16_e32 v57, v49, v53
	v_lshrrev_b32_e32 v58, 16, v30
	v_lshrrev_b32_e32 v65, 16, v28
	v_fmac_f16_e32 v62, 0x38b4, v51
	v_fmac_f16_e32 v54, 0xb8b4, v51
	v_add_f16_e32 v51, v34, v26
	v_add_f16_e32 v55, v55, v56
	v_fmamk_f16 v47, v57, 0xbb9c, v45
	v_sub_f16_e32 v56, v58, v65
	v_sub_f16_e32 v67, v26, v28
	;; [unrolled: 1-line block ×3, first 2 shown]
	v_fmac_f16_e32 v45, 0x3b9c, v57
	v_fma_f16 v51, -0.5, v51, v32
	v_fmac_f16_e32 v47, 0xb8b4, v56
	v_fmac_f16_e32 v62, 0x34f2, v55
	v_add_f16_e32 v67, v68, v67
	v_fmac_f16_e32 v45, 0x38b4, v56
	v_fmamk_f16 v68, v56, 0x3b9c, v51
	v_fmac_f16_e32 v51, 0xbb9c, v56
	v_fmac_f16_e32 v54, 0x34f2, v55
	;; [unrolled: 1-line block ×4, first 2 shown]
	v_add_f16_e32 v55, v58, v65
	v_lshrrev_b32_e32 v67, 16, v32
	v_sub_f16_e32 v69, v28, v26
	v_sub_f16_e32 v70, v30, v34
	v_fmac_f16_e32 v68, 0xb8b4, v57
	v_fmac_f16_e32 v51, 0x38b4, v57
	v_add_f16_e32 v57, v49, v53
	v_fma_f16 v55, -0.5, v55, v67
	v_sub_f16_e32 v56, v34, v26
	v_add_f16_e32 v69, v70, v69
	v_sub_f16_e32 v71, v30, v28
	v_fmac_f16_e32 v67, -0.5, v57
	v_pk_add_f16 v32, v32, v34
	v_fmamk_f16 v70, v56, 0x3b9c, v55
	v_fmac_f16_e32 v68, 0x34f2, v69
	v_fmac_f16_e32 v51, 0x34f2, v69
	v_sub_f16_e32 v34, v49, v58
	v_sub_f16_e32 v57, v53, v65
	v_fmamk_f16 v69, v71, 0xbb9c, v67
	v_sub_f16_e32 v49, v58, v49
	v_sub_f16_e32 v53, v65, v53
	v_fmac_f16_e32 v67, 0x3b9c, v71
	v_fmac_f16_e32 v55, 0xbb9c, v56
	;; [unrolled: 1-line block ×3, first 2 shown]
	v_add_f16_e32 v34, v34, v57
	v_fmac_f16_e32 v69, 0x38b4, v56
	v_add_f16_e32 v49, v49, v53
	v_fmac_f16_e32 v67, 0xb8b4, v56
	v_fmac_f16_e32 v55, 0xb8b4, v71
	v_pk_add_f16 v30, v32, v30
	v_fmac_f16_e32 v70, 0x34f2, v34
	v_fmac_f16_e32 v69, 0x34f2, v49
	;; [unrolled: 1-line block ×4, first 2 shown]
	v_pk_add_f16 v28, v30, v28
	v_mul_f16_e32 v30, 0xb8b4, v70
	v_mul_f16_e32 v32, 0xbb9c, v69
	;; [unrolled: 1-line block ×7, first 2 shown]
	v_pk_add_f16 v26, v28, v26
	v_fmac_f16_e32 v30, 0x3a79, v47
	v_fmac_f16_e32 v32, 0x34f2, v68
	;; [unrolled: 1-line block ×4, first 2 shown]
	v_mul_f16_e32 v28, 0x38b4, v47
	v_fmac_f16_e32 v58, 0x3b9c, v68
	v_fmac_f16_e32 v65, 0x3b9c, v51
	;; [unrolled: 1-line block ×3, first 2 shown]
	v_add_f16_e32 v45, v46, v48
	v_lshrrev_b32_e32 v51, 16, v50
	v_lshrrev_b32_e32 v68, 16, v52
	v_add_f16_e32 v47, v66, v30
	v_fmac_f16_e32 v28, 0x3a79, v70
	v_fma_f16 v45, -0.5, v45, v44
	v_lshrrev_b32_e32 v74, 16, v46
	v_sub_f16_e32 v73, v51, v68
	v_lshrrev_b32_e32 v75, 16, v48
	v_sub_f16_e32 v30, v66, v30
	v_sub_f16_e32 v66, v52, v48
	;; [unrolled: 1-line block ×3, first 2 shown]
	v_add_f16_e32 v53, v60, v32
	v_add_f16_e32 v56, v61, v34
	;; [unrolled: 1-line block ×6, first 2 shown]
	v_sub_f16_e32 v32, v60, v32
	v_sub_f16_e32 v34, v61, v34
	v_fmamk_f16 v60, v73, 0xbb9c, v45
	v_sub_f16_e32 v61, v74, v75
	v_sub_f16_e32 v49, v63, v49
	v_add_f16_e32 v63, v50, v52
	v_sub_f16_e32 v28, v59, v28
	v_add_f16_e32 v59, v76, v66
	v_sub_f16_e32 v54, v54, v65
	v_sub_f16_e32 v55, v64, v55
	v_fmac_f16_e32 v45, 0x3b9c, v73
	v_sub_f16_e32 v64, v48, v52
	v_sub_f16_e32 v65, v46, v50
	v_add_f16_e32 v66, v74, v75
	v_lshrrev_b32_e32 v76, 16, v44
	v_add_f16_e32 v70, v62, v58
	v_fmac_f16_e32 v60, 0xb8b4, v61
	v_sub_f16_e32 v58, v62, v58
	v_fma_f16 v62, -0.5, v63, v44
	v_fmac_f16_e32 v45, 0x38b4, v61
	v_add_f16_e32 v64, v65, v64
	v_pk_add_f16 v44, v44, v50
	v_fma_f16 v65, -0.5, v66, v76
	v_sub_f16_e32 v50, v50, v52
	v_fmac_f16_e32 v60, 0x34f2, v59
	v_fmamk_f16 v63, v61, 0x3b9c, v62
	v_fmac_f16_e32 v45, 0x34f2, v59
	v_fmac_f16_e32 v62, 0xbb9c, v61
	v_pk_add_f16 v44, v44, v46
	v_fmamk_f16 v59, v50, 0x3b9c, v65
	v_sub_f16_e32 v46, v46, v48
	v_sub_f16_e32 v61, v51, v74
	;; [unrolled: 1-line block ×3, first 2 shown]
	v_fmac_f16_e32 v65, 0xbb9c, v50
	v_pk_add_f16 v44, v44, v48
	v_fmac_f16_e32 v59, 0x38b4, v46
	v_fmac_f16_e32 v63, 0xb8b4, v73
	v_add_f16_e32 v48, v61, v66
	v_add_f16_e32 v61, v51, v68
	v_fmac_f16_e32 v65, 0xb8b4, v46
	v_pk_add_f16 v44, v44, v52
	v_lshrrev_b32_e32 v52, 16, v33
	v_fmac_f16_e32 v59, 0x34f2, v48
	v_fmac_f16_e32 v76, -0.5, v61
	v_fmac_f16_e32 v65, 0x34f2, v48
	v_add_f16_e32 v48, v29, v27
	v_lshrrev_b32_e32 v61, 16, v25
	v_fmac_f16_e32 v62, 0x38b4, v73
	v_sub_f16_e32 v51, v74, v51
	v_sub_f16_e32 v66, v75, v68
	v_fma_f16 v48, -0.5, v48, v31
	v_sub_f16_e32 v68, v52, v61
	v_lshrrev_b32_e32 v73, 16, v29
	v_lshrrev_b32_e32 v74, 16, v27
	v_fmac_f16_e32 v63, 0x34f2, v64
	v_fmac_f16_e32 v62, 0x34f2, v64
	v_fmamk_f16 v64, v46, 0xbb9c, v76
	v_add_f16_e32 v51, v51, v66
	v_fmac_f16_e32 v76, 0x3b9c, v46
	v_fmamk_f16 v46, v68, 0xbb9c, v48
	v_sub_f16_e32 v66, v73, v74
	v_sub_f16_e32 v75, v25, v27
	;; [unrolled: 1-line block ×3, first 2 shown]
	v_fmac_f16_e32 v48, 0x3b9c, v68
	v_add_f16_e32 v78, v33, v25
	v_fmac_f16_e32 v64, 0x38b4, v50
	v_fmac_f16_e32 v76, 0xb8b4, v50
	;; [unrolled: 1-line block ×3, first 2 shown]
	v_add_f16_e32 v50, v77, v75
	v_fmac_f16_e32 v48, 0x38b4, v66
	v_fma_f16 v75, -0.5, v78, v31
	v_fmac_f16_e32 v64, 0x34f2, v51
	v_fmac_f16_e32 v76, 0x34f2, v51
	;; [unrolled: 1-line block ×4, first 2 shown]
	v_fmamk_f16 v50, v66, 0x3b9c, v75
	v_sub_f16_e32 v51, v27, v25
	v_sub_f16_e32 v77, v29, v33
	v_fmac_f16_e32 v75, 0xbb9c, v66
	v_add_f16_e32 v66, v73, v74
	v_lshrrev_b32_e32 v78, 16, v31
	v_fmac_f16_e32 v50, 0xb8b4, v68
	v_add_f16_e32 v51, v77, v51
	v_fmac_f16_e32 v75, 0x38b4, v68
	v_add_f16_e32 v68, v52, v61
	v_fma_f16 v66, -0.5, v66, v78
	v_sub_f16_e32 v77, v33, v25
	v_fmac_f16_e32 v50, 0x34f2, v51
	v_sub_f16_e32 v79, v29, v27
	v_fmac_f16_e32 v78, -0.5, v68
	v_fmac_f16_e32 v75, 0x34f2, v51
	v_fmamk_f16 v51, v77, 0x3b9c, v66
	v_sub_f16_e32 v68, v52, v73
	v_sub_f16_e32 v80, v61, v74
	v_fmamk_f16 v81, v79, 0xbb9c, v78
	v_sub_f16_e32 v52, v73, v52
	v_sub_f16_e32 v61, v74, v61
	v_fmac_f16_e32 v78, 0x3b9c, v79
	v_fmac_f16_e32 v51, 0x38b4, v79
	v_add_f16_e32 v68, v68, v80
	v_pk_add_f16 v31, v31, v33
	v_add_f16_e32 v52, v52, v61
	v_fmac_f16_e32 v78, 0xb8b4, v77
	v_fmac_f16_e32 v81, 0x38b4, v77
	;; [unrolled: 1-line block ×4, first 2 shown]
	v_pk_add_f16 v29, v31, v29
	v_fmac_f16_e32 v78, 0x34f2, v52
	v_fmac_f16_e32 v81, 0x34f2, v52
	v_mul_f16_e32 v31, 0xb8b4, v51
	v_fmac_f16_e32 v66, 0xb8b4, v79
	v_pk_add_f16 v27, v29, v27
	v_mul_f16_e32 v52, 0xbb9c, v78
	v_mul_f16_e32 v33, 0xbb9c, v81
	v_fmac_f16_e32 v31, 0x3a79, v46
	v_mul_f16_e32 v46, 0x38b4, v46
	v_fmac_f16_e32 v66, 0x34f2, v68
	v_fmac_f16_e32 v52, 0xb4f2, v75
	v_mul_f16_e32 v73, 0x34f2, v81
	v_fmac_f16_e32 v33, 0x34f2, v50
	v_fmac_f16_e32 v46, 0x3a79, v51
	v_mul_f16_e32 v29, 0xb8b4, v66
	v_pk_add_f16 v25, v27, v25
	v_add_f16_e32 v27, v60, v31
	v_add_f16_e32 v68, v62, v52
	v_fmac_f16_e32 v73, 0x3b9c, v50
	v_add_f16_e32 v50, v59, v46
	v_sub_f16_e32 v52, v62, v52
	v_and_b32_e32 v62, 0xff, v3
	v_mul_f16_e32 v74, 0xb4f2, v78
	v_mul_f16_e32 v66, 0xba79, v66
	v_fmac_f16_e32 v29, 0xba79, v48
	v_pack_b32_f16 v27, v27, v50
	v_mul_lo_u16 v50, 0xcd, v62
	v_fmac_f16_e32 v74, 0x3b9c, v75
	v_fmac_f16_e32 v66, 0x38b4, v48
	v_add_f16_e32 v61, v63, v33
	v_add_f16_e32 v77, v45, v29
	v_pk_add_f16 v48, v44, v25
	v_sub_f16_e32 v33, v63, v33
	v_sub_f16_e32 v29, v45, v29
	;; [unrolled: 1-line block ×4, first 2 shown]
	v_pk_add_f16 v44, v44, v25 neg_lo:[0,1] neg_hi:[0,1]
	v_lshrrev_b16 v25, 11, v50
	v_add_f16_e32 v51, v64, v73
	v_add_f16_e32 v75, v76, v74
	v_add_f16_e32 v78, v65, v66
	v_sub_f16_e32 v31, v60, v31
	v_sub_f16_e32 v59, v76, v74
	;; [unrolled: 1-line block ×3, first 2 shown]
	v_pack_b32_f16 v33, v33, v46
	v_mul_lo_u16 v46, v25, 10
	v_pack_b32_f16 v62, v68, v75
	v_pack_b32_f16 v51, v61, v51
	;; [unrolled: 1-line block ×6, first 2 shown]
	ds_store_2addr_b32 v39, v48, v27 offset1:1
	ds_store_2addr_b32 v39, v51, v62 offset0:2 offset1:3
	ds_store_2addr_b32 v39, v61, v44 offset0:4 offset1:5
	;; [unrolled: 1-line block ×4, first 2 shown]
	v_sub_nc_u16 v29, v3, v46
	v_pk_add_f16 v67, v43, v26
	v_pk_add_f16 v39, v43, v26 neg_lo:[0,1] neg_hi:[0,1]
	v_pack_b32_f16 v27, v47, v69
	v_pack_b32_f16 v31, v56, v71
	v_and_b32_e32 v26, 0xff, v29
	v_pack_b32_f16 v29, v32, v58
	v_and_b32_e32 v32, 0xffff, v7
	v_pack_b32_f16 v33, v53, v70
	v_pack_b32_f16 v43, v57, v72
	;; [unrolled: 1-line block ×4, first 2 shown]
	v_mul_u32_u24_e32 v32, 0xcccd, v32
	v_pack_b32_f16 v34, v34, v54
	ds_store_2addr_b32 v35, v67, v27 offset1:1
	ds_store_2addr_b32 v35, v33, v31 offset0:2 offset1:3
	ds_store_2addr_b32 v35, v43, v39 offset0:4 offset1:5
	;; [unrolled: 1-line block ×4, first 2 shown]
	v_mul_u32_u24_e32 v44, 9, v26
	global_wb scope:SCOPE_SE
	s_wait_dscnt 0x0
	v_lshrrev_b32_e32 v27, 19, v32
	s_barrier_signal -1
	s_barrier_wait -1
	v_lshlrev_b32_e32 v29, 2, v44
	global_inv scope:SCOPE_SE
	v_mul_lo_u16 v28, v27, 10
	v_lshl_add_u32 v33, v23, 2, 0
	v_lshl_add_u32 v39, v21, 2, 0
	global_load_b128 v[43:46], v29, s[8:9]
	v_lshl_add_u32 v34, v17, 2, 0
	v_sub_nc_u16 v28, v7, v28
	v_and_b32_e32 v25, 0xffff, v25
	v_lshlrev_b32_e32 v26, 2, v26
	v_mul_u32_u24_e32 v27, 0x190, v27
	v_lshlrev_b64_e32 v[23:24], 2, v[23:24]
	v_and_b32_e32 v28, 0xffff, v28
	v_mul_u32_u24_e32 v25, 0x190, v25
	s_delay_alu instid0(VALU_DEP_2) | instskip(NEXT) | instid1(VALU_DEP_2)
	v_mul_u32_u24_e32 v30, 9, v28
	v_add3_u32 v25, 0, v25, v26
	v_lshlrev_b32_e32 v28, 2, v28
	s_delay_alu instid0(VALU_DEP_3)
	v_lshlrev_b32_e32 v30, 2, v30
	s_clause 0x4
	global_load_b128 v[47:50], v30, s[8:9]
	global_load_b128 v[51:54], v29, s[8:9] offset:16
	global_load_b32 v71, v29, s[8:9] offset:32
	global_load_b128 v[55:58], v30, s[8:9] offset:16
	global_load_b32 v72, v30, s[8:9] offset:32
	v_add_nc_u32_e32 v30, 0x80, v0
	ds_load_2addr_b32 v[59:60], v40 offset0:64 offset1:224
	ds_load_b32 v73, v33
	ds_load_b32 v74, v0
	ds_load_2addr_b32 v[61:62], v38 offset1:160
	ds_load_2addr_stride64_b32 v[31:32], v30 offset0:7 offset1:12
	ds_load_b32 v75, v39
	v_lshl_add_u32 v38, v11, 2, 0
	v_mad_i32_i24 v40, 0xffffffdc, v7, v35
	ds_load_b32 v76, v38
	ds_load_b32 v29, v40
	;; [unrolled: 1-line block ×3, first 2 shown]
	ds_load_2addr_b32 v[63:64], v42 offset0:64 offset1:224
	ds_load_2addr_b32 v[65:66], v41 offset1:160
	ds_load_2addr_b32 v[67:68], v37 offset0:64 offset1:224
	ds_load_2addr_stride64_b32 v[69:70], v30 offset0:17 offset1:22
	global_wb scope:SCOPE_SE
	s_wait_loadcnt_dscnt 0x0
	s_barrier_signal -1
	s_barrier_wait -1
	global_inv scope:SCOPE_SE
	v_add3_u32 v27, 0, v27, v28
	v_lshrrev_b32_e32 v30, 16, v73
	v_lshrrev_b32_e32 v79, 16, v59
	;; [unrolled: 1-line block ×12, first 2 shown]
	s_delay_alu instid0(VALU_DEP_3) | instskip(SKIP_1) | instid1(VALU_DEP_4)
	v_mul_f16_e32 v85, v42, v41
	v_mul_f16_e32 v42, v42, v75
	;; [unrolled: 1-line block ×5, first 2 shown]
	v_fmac_f16_e32 v85, v43, v75
	v_lshrrev_b32_e32 v75, 16, v46
	v_fma_f16 v89, v43, v41, -v42
	v_mul_f16_e32 v41, v87, v77
	v_fmac_f16_e32 v88, v44, v76
	v_fma_f16 v76, v44, v83, -v84
	v_mul_f16_e32 v83, v30, v75
	v_mul_f16_e32 v43, v73, v75
	v_fma_f16 v75, v45, v86, -v41
	v_lshrrev_b32_e32 v41, 16, v47
	v_lshrrev_b32_e32 v44, 16, v48
	;; [unrolled: 1-line block ×3, first 2 shown]
	v_fmac_f16_e32 v90, v45, v77
	v_fmac_f16_e32 v83, v73, v46
	v_lshrrev_b32_e32 v45, 16, v70
	v_fma_f16 v46, v30, v46, -v43
	v_mul_f16_e32 v43, v31, v41
	v_mul_f16_e32 v30, v81, v41
	;; [unrolled: 1-line block ×3, first 2 shown]
	v_lshrrev_b32_e32 v77, 16, v49
	v_lshrrev_b32_e32 v84, 16, v50
	v_mul_f16_e32 v44, v32, v44
	v_fmac_f16_e32 v30, v31, v47
	v_fma_f16 v31, v81, v47, -v43
	v_mul_f16_e32 v41, v42, v77
	v_mul_f16_e32 v86, v45, v84
	;; [unrolled: 1-line block ×4, first 2 shown]
	v_fma_f16 v47, v82, v48, -v44
	v_lshrrev_b32_e32 v44, 16, v51
	v_fmac_f16_e32 v41, v69, v49
	v_fmac_f16_e32 v86, v70, v50
	v_fma_f16 v42, v42, v49, -v77
	v_fma_f16 v49, v45, v50, -v84
	v_mul_f16_e32 v50, v59, v44
	v_lshrrev_b32_e32 v77, 16, v53
	v_fmac_f16_e32 v73, v32, v48
	v_lshrrev_b32_e32 v32, 16, v63
	v_lshrrev_b32_e32 v45, 16, v52
	v_mul_f16_e32 v81, v79, v44
	v_lshrrev_b32_e32 v44, 16, v54
	v_fma_f16 v50, v79, v51, -v50
	v_mul_f16_e32 v79, v63, v77
	v_lshrrev_b32_e32 v69, 16, v65
	v_mul_f16_e32 v82, v61, v45
	v_fmac_f16_e32 v81, v59, v51
	v_mul_f16_e32 v51, v80, v45
	v_mul_f16_e32 v77, v32, v77
	v_fma_f16 v79, v32, v53, -v79
	v_mul_f16_e32 v32, v65, v44
	v_lshrrev_b32_e32 v45, 16, v71
	v_lshrrev_b32_e32 v70, 16, v67
	;; [unrolled: 1-line block ×3, first 2 shown]
	v_fma_f16 v59, v80, v52, -v82
	v_mul_f16_e32 v80, v69, v44
	v_fmac_f16_e32 v51, v61, v52
	v_fma_f16 v52, v69, v54, -v32
	v_lshrrev_b32_e32 v32, 16, v55
	v_mul_f16_e32 v44, v67, v45
	v_lshrrev_b32_e32 v48, 16, v62
	v_fmac_f16_e32 v77, v63, v53
	v_fmac_f16_e32 v80, v65, v54
	v_mul_f16_e32 v54, v70, v45
	v_mul_f16_e32 v45, v43, v32
	v_lshrrev_b32_e32 v61, 16, v56
	v_fma_f16 v63, v70, v71, -v44
	v_lshrrev_b32_e32 v44, 16, v57
	v_lshrrev_b32_e32 v53, 16, v64
	;; [unrolled: 1-line block ×3, first 2 shown]
	v_mul_f16_e32 v32, v60, v32
	v_fmac_f16_e32 v45, v60, v55
	v_mul_f16_e32 v60, v48, v61
	v_lshrrev_b32_e32 v69, 16, v58
	v_mul_f16_e32 v70, v64, v44
	v_mul_f16_e32 v61, v62, v61
	v_fmac_f16_e32 v54, v67, v71
	v_fmac_f16_e32 v60, v62, v56
	v_mul_f16_e32 v62, v53, v44
	v_fma_f16 v44, v43, v55, -v32
	v_fma_f16 v43, v53, v57, -v70
	v_add_f16_e32 v32, v83, v51
	v_mul_f16_e32 v53, v65, v69
	v_lshrrev_b32_e32 v67, 16, v68
	v_fma_f16 v48, v48, v56, -v61
	v_fmac_f16_e32 v62, v64, v57
	v_lshrrev_b32_e32 v55, 16, v72
	v_mul_f16_e32 v56, v66, v69
	v_add_f16_e32 v61, v74, v88
	v_fma_f16 v64, -0.5, v32, v74
	v_fmac_f16_e32 v53, v66, v58
	v_sub_f16_e32 v66, v76, v52
	v_add_f16_e32 v71, v88, v80
	v_mul_f16_e32 v57, v67, v55
	v_fma_f16 v56, v65, v58, -v56
	v_add_f16_e32 v58, v61, v83
	v_fmamk_f16 v61, v66, 0xbb9c, v64
	v_sub_f16_e32 v65, v46, v59
	v_sub_f16_e32 v69, v88, v83
	;; [unrolled: 1-line block ×3, first 2 shown]
	v_mul_f16_e32 v55, v68, v55
	v_fmac_f16_e32 v74, -0.5, v71
	v_fmac_f16_e32 v64, 0x3b9c, v66
	v_add_f16_e32 v71, v78, v76
	v_fmac_f16_e32 v57, v68, v72
	v_fmac_f16_e32 v61, 0xb8b4, v65
	v_add_f16_e32 v68, v69, v70
	v_fma_f16 v55, v67, v72, -v55
	v_fmamk_f16 v67, v65, 0x3b9c, v74
	v_sub_f16_e32 v69, v83, v88
	v_sub_f16_e32 v70, v51, v80
	v_fmac_f16_e32 v64, 0x38b4, v65
	v_add_f16_e32 v72, v46, v59
	v_fmac_f16_e32 v74, 0xbb9c, v65
	v_add_f16_e32 v65, v71, v46
	v_add_f16_e32 v58, v58, v51
	v_fmac_f16_e32 v61, 0x34f2, v68
	v_add_f16_e32 v69, v69, v70
	v_fma_f16 v70, -0.5, v72, v78
	v_sub_f16_e32 v71, v88, v80
	v_fmac_f16_e32 v64, 0x34f2, v68
	v_add_f16_e32 v65, v65, v59
	v_add_f16_e32 v68, v76, v52
	;; [unrolled: 1-line block ×3, first 2 shown]
	v_fmac_f16_e32 v67, 0xb8b4, v66
	v_fmac_f16_e32 v74, 0x38b4, v66
	v_fmamk_f16 v66, v71, 0x3b9c, v70
	v_sub_f16_e32 v51, v83, v51
	v_sub_f16_e32 v72, v76, v46
	;; [unrolled: 1-line block ×3, first 2 shown]
	v_fmac_f16_e32 v78, -0.5, v68
	v_add_f16_e32 v65, v65, v52
	v_fmac_f16_e32 v70, 0xbb9c, v71
	v_sub_f16_e32 v46, v46, v76
	v_sub_f16_e32 v52, v59, v52
	v_add_f16_e32 v59, v85, v90
	v_fmac_f16_e32 v67, 0x34f2, v69
	v_fmac_f16_e32 v74, 0x34f2, v69
	;; [unrolled: 1-line block ×3, first 2 shown]
	v_add_f16_e32 v68, v72, v80
	v_fmamk_f16 v69, v51, 0xbb9c, v78
	v_fmac_f16_e32 v70, 0xb8b4, v51
	v_add_f16_e32 v46, v46, v52
	v_fmac_f16_e32 v78, 0x3b9c, v51
	v_add_f16_e32 v51, v59, v81
	v_add_f16_e32 v52, v81, v77
	v_fmac_f16_e32 v66, 0x34f2, v68
	v_fmac_f16_e32 v69, 0x38b4, v71
	;; [unrolled: 1-line block ×4, first 2 shown]
	v_add_f16_e32 v51, v51, v77
	v_fma_f16 v52, -0.5, v52, v85
	v_add_f16_e32 v59, v90, v54
	v_sub_f16_e32 v68, v75, v63
	v_fmac_f16_e32 v69, 0x34f2, v46
	v_fmac_f16_e32 v78, 0x34f2, v46
	v_add_f16_e32 v46, v51, v54
	v_sub_f16_e32 v51, v50, v79
	v_fmac_f16_e32 v85, -0.5, v59
	v_fmamk_f16 v59, v68, 0xbb9c, v52
	v_fmac_f16_e32 v52, 0x3b9c, v68
	v_sub_f16_e32 v71, v90, v81
	v_sub_f16_e32 v72, v54, v77
	v_fmamk_f16 v76, v51, 0x3b9c, v85
	v_sub_f16_e32 v80, v81, v90
	v_sub_f16_e32 v82, v77, v54
	v_fmac_f16_e32 v59, 0xb8b4, v51
	v_fmac_f16_e32 v52, 0x38b4, v51
	;; [unrolled: 1-line block ×3, first 2 shown]
	v_add_f16_e32 v51, v50, v79
	v_add_f16_e32 v71, v71, v72
	v_fmac_f16_e32 v76, 0xb8b4, v68
	v_add_f16_e32 v72, v80, v82
	v_fmac_f16_e32 v85, 0x38b4, v68
	v_add_f16_e32 v68, v75, v63
	v_fma_f16 v51, -0.5, v51, v89
	v_sub_f16_e32 v54, v90, v54
	v_fmac_f16_e32 v59, 0x34f2, v71
	v_fmac_f16_e32 v52, 0x34f2, v71
	;; [unrolled: 1-line block ×3, first 2 shown]
	v_add_f16_e32 v71, v89, v75
	v_sub_f16_e32 v77, v81, v77
	v_fmac_f16_e32 v89, -0.5, v68
	v_fmac_f16_e32 v85, 0x34f2, v72
	v_fmamk_f16 v68, v54, 0x3b9c, v51
	v_sub_f16_e32 v72, v75, v50
	v_sub_f16_e32 v80, v63, v79
	v_fmac_f16_e32 v51, 0xbb9c, v54
	v_fmamk_f16 v81, v77, 0xbb9c, v89
	v_sub_f16_e32 v75, v50, v75
	v_sub_f16_e32 v82, v79, v63
	v_add_f16_e32 v72, v72, v80
	v_add_f16_e32 v50, v71, v50
	v_fmac_f16_e32 v51, 0xb8b4, v77
	v_fmac_f16_e32 v89, 0x3b9c, v77
	;; [unrolled: 1-line block ×4, first 2 shown]
	v_add_f16_e32 v75, v75, v82
	v_add_f16_e32 v50, v50, v79
	v_fmac_f16_e32 v51, 0x34f2, v72
	v_fmac_f16_e32 v89, 0xb8b4, v54
	;; [unrolled: 1-line block ×4, first 2 shown]
	v_add_f16_e32 v50, v50, v63
	v_mul_f16_e32 v63, 0xb8b4, v51
	v_fmac_f16_e32 v89, 0x34f2, v75
	v_mul_f16_e32 v54, 0xb8b4, v68
	v_mul_f16_e32 v71, 0xbb9c, v81
	;; [unrolled: 1-line block ×3, first 2 shown]
	v_fmac_f16_e32 v63, 0xba79, v52
	v_mul_f16_e32 v81, 0x34f2, v81
	v_mul_f16_e32 v75, 0xbb9c, v89
	v_fmac_f16_e32 v54, 0x3a79, v59
	v_fmac_f16_e32 v71, 0x34f2, v76
	v_add_f16_e32 v72, v58, v46
	v_mul_f16_e32 v82, 0xb4f2, v89
	v_mul_f16_e32 v51, 0xba79, v51
	v_add_f16_e32 v83, v64, v63
	v_fmac_f16_e32 v68, 0x38b4, v59
	v_fmac_f16_e32 v81, 0x3b9c, v76
	v_sub_f16_e32 v46, v58, v46
	v_add_f16_e32 v58, v86, v60
	v_sub_f16_e32 v63, v64, v63
	v_add_f16_e32 v64, v29, v73
	v_lshrrev_b32_e32 v32, 16, v29
	v_fmac_f16_e32 v75, 0xb4f2, v85
	v_add_f16_e32 v77, v61, v54
	v_add_f16_e32 v79, v67, v71
	v_fmac_f16_e32 v82, 0x3b9c, v85
	v_fmac_f16_e32 v51, 0x38b4, v52
	v_add_f16_e32 v52, v65, v50
	v_add_f16_e32 v59, v66, v68
	;; [unrolled: 1-line block ×3, first 2 shown]
	v_sub_f16_e32 v54, v61, v54
	v_sub_f16_e32 v61, v67, v71
	v_fma_f16 v58, -0.5, v58, v29
	v_sub_f16_e32 v71, v47, v56
	v_sub_f16_e32 v50, v65, v50
	;; [unrolled: 1-line block ×4, first 2 shown]
	v_add_f16_e32 v64, v64, v86
	v_add_f16_e32 v81, v73, v53
	;; [unrolled: 1-line block ×4, first 2 shown]
	v_sub_f16_e32 v67, v74, v75
	v_fmamk_f16 v68, v71, 0xbb9c, v58
	v_sub_f16_e32 v69, v49, v48
	v_sub_f16_e32 v74, v73, v86
	;; [unrolled: 1-line block ×4, first 2 shown]
	v_add_f16_e32 v64, v64, v60
	v_fmac_f16_e32 v29, -0.5, v81
	v_fmac_f16_e32 v58, 0x3b9c, v71
	v_add_f16_e32 v82, v32, v47
	v_add_f16_e32 v85, v70, v51
	v_fmac_f16_e32 v68, 0xb8b4, v69
	v_add_f16_e32 v74, v74, v75
	v_sub_f16_e32 v51, v70, v51
	v_add_f16_e32 v64, v64, v53
	v_fmamk_f16 v70, v69, 0x3b9c, v29
	v_sub_f16_e32 v75, v86, v73
	v_sub_f16_e32 v81, v60, v53
	v_fmac_f16_e32 v58, 0x38b4, v69
	v_add_f16_e32 v87, v49, v48
	v_fmac_f16_e32 v29, 0xbb9c, v69
	v_add_f16_e32 v69, v82, v49
	v_sub_f16_e32 v53, v73, v53
	v_add_f16_e32 v73, v47, v56
	v_fmac_f16_e32 v68, 0x34f2, v74
	v_add_f16_e32 v75, v75, v81
	v_fma_f16 v81, -0.5, v87, v32
	v_fmac_f16_e32 v58, 0x34f2, v74
	v_add_f16_e32 v69, v69, v48
	v_sub_f16_e32 v60, v86, v60
	v_sub_f16_e32 v74, v47, v49
	;; [unrolled: 1-line block ×3, first 2 shown]
	v_fmac_f16_e32 v32, -0.5, v73
	v_sub_f16_e32 v47, v49, v47
	v_sub_f16_e32 v48, v48, v56
	v_add_f16_e32 v49, v30, v41
	v_add_f16_e32 v73, v74, v82
	v_fmamk_f16 v74, v60, 0xbb9c, v32
	v_fmac_f16_e32 v32, 0x3b9c, v60
	v_add_f16_e32 v47, v47, v48
	v_add_f16_e32 v48, v49, v45
	v_fmac_f16_e32 v70, 0xb8b4, v71
	v_fmac_f16_e32 v29, 0x38b4, v71
	v_fmamk_f16 v71, v53, 0x3b9c, v81
	v_fmac_f16_e32 v81, 0xbb9c, v53
	v_fmac_f16_e32 v74, 0x38b4, v53
	v_add_f16_e32 v49, v45, v62
	v_fmac_f16_e32 v32, 0xb8b4, v53
	v_add_f16_e32 v48, v48, v62
	v_add_f16_e32 v53, v41, v57
	;; [unrolled: 1-line block ×3, first 2 shown]
	v_fmac_f16_e32 v74, 0x34f2, v47
	v_fma_f16 v49, -0.5, v49, v30
	v_sub_f16_e32 v56, v42, v55
	v_fmac_f16_e32 v32, 0x34f2, v47
	v_add_f16_e32 v47, v48, v57
	v_sub_f16_e32 v48, v44, v43
	v_fmac_f16_e32 v30, -0.5, v53
	v_fmac_f16_e32 v70, 0x34f2, v75
	v_fmac_f16_e32 v29, 0x34f2, v75
	;; [unrolled: 1-line block ×4, first 2 shown]
	v_fmamk_f16 v53, v56, 0xbb9c, v49
	v_fmac_f16_e32 v49, 0x3b9c, v56
	v_fmamk_f16 v75, v48, 0x3b9c, v30
	v_fmac_f16_e32 v30, 0xbb9c, v48
	v_fmac_f16_e32 v71, 0x34f2, v73
	;; [unrolled: 1-line block ×3, first 2 shown]
	v_sub_f16_e32 v60, v41, v45
	v_sub_f16_e32 v73, v57, v62
	;; [unrolled: 1-line block ×4, first 2 shown]
	v_fmac_f16_e32 v53, 0xb8b4, v48
	v_fmac_f16_e32 v49, 0x38b4, v48
	;; [unrolled: 1-line block ×3, first 2 shown]
	v_add_f16_e32 v48, v44, v43
	v_fmac_f16_e32 v30, 0x38b4, v56
	v_add_f16_e32 v56, v42, v55
	v_add_f16_e32 v60, v60, v73
	;; [unrolled: 1-line block ×3, first 2 shown]
	v_fma_f16 v48, -0.5, v48, v31
	v_sub_f16_e32 v41, v41, v57
	v_add_f16_e32 v57, v31, v42
	v_sub_f16_e32 v45, v45, v62
	v_fmac_f16_e32 v31, -0.5, v56
	v_fmac_f16_e32 v53, 0x34f2, v60
	v_fmac_f16_e32 v49, 0x34f2, v60
	;; [unrolled: 1-line block ×4, first 2 shown]
	v_fmamk_f16 v56, v41, 0x3b9c, v48
	v_sub_f16_e32 v60, v42, v44
	v_sub_f16_e32 v62, v55, v43
	v_fmamk_f16 v73, v45, 0xbb9c, v31
	v_sub_f16_e32 v42, v44, v42
	v_sub_f16_e32 v82, v43, v55
	v_fmac_f16_e32 v31, 0x3b9c, v45
	v_fmac_f16_e32 v48, 0xbb9c, v41
	v_add_f16_e32 v60, v60, v62
	v_fmac_f16_e32 v56, 0x38b4, v45
	v_add_f16_e32 v42, v42, v82
	v_fmac_f16_e32 v31, 0xb8b4, v41
	v_fmac_f16_e32 v48, 0xb8b4, v45
	;; [unrolled: 1-line block ×3, first 2 shown]
	v_add_f16_e32 v41, v57, v44
	v_fmac_f16_e32 v56, 0x34f2, v60
	v_fmac_f16_e32 v31, 0x34f2, v42
	;; [unrolled: 1-line block ×4, first 2 shown]
	v_add_f16_e32 v41, v41, v43
	v_mul_f16_e32 v42, 0xb8b4, v56
	v_mul_f16_e32 v44, 0xbb9c, v31
	;; [unrolled: 1-line block ×8, first 2 shown]
	v_fmac_f16_e32 v31, 0x3b9c, v30
	v_fmac_f16_e32 v48, 0x38b4, v49
	v_add_f16_e32 v41, v41, v55
	v_fmac_f16_e32 v42, 0x3a79, v53
	v_fmac_f16_e32 v43, 0x34f2, v75
	;; [unrolled: 1-line block ×4, first 2 shown]
	v_add_f16_e32 v75, v32, v31
	v_add_f16_e32 v86, v81, v48
	v_sub_f16_e32 v31, v32, v31
	v_sub_f16_e32 v32, v81, v48
	v_pack_b32_f16 v26, v72, v52
	v_pack_b32_f16 v48, v77, v59
	v_fmac_f16_e32 v44, 0xb4f2, v30
	v_fmac_f16_e32 v45, 0xba79, v49
	v_add_f16_e32 v55, v64, v47
	v_add_f16_e32 v57, v68, v42
	v_add_f16_e32 v30, v69, v41
	v_add_f16_e32 v49, v71, v56
	ds_store_2addr_b32 v25, v26, v48 offset1:10
	v_pack_b32_f16 v26, v79, v76
	v_pack_b32_f16 v48, v80, v84
	;; [unrolled: 1-line block ×6, first 2 shown]
	v_add_f16_e32 v60, v70, v43
	v_add_f16_e32 v62, v29, v44
	;; [unrolled: 1-line block ×4, first 2 shown]
	v_sub_f16_e32 v29, v29, v44
	v_sub_f16_e32 v44, v58, v45
	v_pack_b32_f16 v58, v67, v78
	v_pack_b32_f16 v51, v63, v51
	v_sub_f16_e32 v47, v64, v47
	v_sub_f16_e32 v41, v69, v41
	ds_store_2addr_b32 v25, v26, v48 offset0:20 offset1:30
	ds_store_2addr_b32 v25, v52, v46 offset0:40 offset1:50
	;; [unrolled: 1-line block ×4, first 2 shown]
	v_pack_b32_f16 v25, v55, v30
	v_pack_b32_f16 v26, v57, v49
	v_sub_f16_e32 v42, v68, v42
	v_sub_f16_e32 v43, v70, v43
	;; [unrolled: 1-line block ×4, first 2 shown]
	v_pack_b32_f16 v28, v60, v53
	v_pack_b32_f16 v30, v62, v75
	;; [unrolled: 1-line block ×4, first 2 shown]
	ds_store_2addr_b32 v27, v25, v26 offset1:10
	v_lshrrev_b16 v25, 2, v7
	v_add_nc_u32_e32 v26, 0xffffff9c, v3
	ds_store_2addr_b32 v27, v28, v30 offset0:20 offset1:30
	ds_store_2addr_b32 v27, v46, v41 offset0:40 offset1:50
	v_pack_b32_f16 v28, v42, v45
	v_pack_b32_f16 v30, v43, v56
	;; [unrolled: 1-line block ×4, first 2 shown]
	v_and_b32_e32 v25, 0xffff, v25
	s_wait_alu 0xf1ff
	v_cndmask_b32_e64 v47, v26, v3, s0
	v_mov_b32_e32 v26, 0
	ds_store_2addr_b32 v27, v28, v30 offset0:60 offset1:70
	ds_store_2addr_b32 v27, v29, v31 offset0:80 offset1:90
	v_lshrrev_b16 v30, 2, v21
	v_mul_u32_u24_e32 v32, 0x147b, v25
	v_mul_i32_i24_e32 v25, 3, v47
	global_wb scope:SCOPE_SE
	s_wait_dscnt 0x0
	s_barrier_signal -1
	v_and_b32_e32 v30, 0xffff, v30
	v_lshrrev_b32_e32 v29, 17, v32
	v_lshlrev_b64_e32 v[27:28], 2, v[25:26]
	s_barrier_wait -1
	global_inv scope:SCOPE_SE
	v_mul_u32_u24_e32 v30, 0x147b, v30
	v_mul_lo_u16 v25, 0x64, v29
	v_lshrrev_b16 v41, 2, v11
	v_add_co_u32 v27, s0, s8, v27
	s_wait_alu 0xf1ff
	v_add_co_ci_u32_e64 v28, s0, s9, v28, s0
	v_lshrrev_b32_e32 v31, 17, v30
	v_sub_nc_u16 v25, v7, v25
	v_add_nc_u32_e32 v44, 0x1b00, v0
	global_load_b96 v[51:53], v[27:28], off offset:360
	v_lshrrev_b16 v27, 2, v13
	v_mul_lo_u16 v30, 0x64, v31
	v_and_b32_e32 v25, 0xffff, v25
	v_add_nc_u32_e32 v43, 0x2500, v0
	ds_load_2addr_b32 v[66:67], v44 offset0:32 offset1:192
	v_and_b32_e32 v27, 0xffff, v27
	v_sub_nc_u16 v30, v21, v30
	v_mul_u32_u24_e32 v28, 3, v25
	v_add_nc_u32_e32 v45, 0x2a00, v0
	v_lshl_add_u32 v42, v13, 2, 0
	v_mul_u32_u24_e32 v27, 0x147b, v27
	v_and_b32_e32 v32, 0xffff, v30
	v_lshlrev_b32_e32 v28, 2, v28
	v_cmp_lt_u32_e64 s0, 0x63, v3
	v_lshlrev_b32_e32 v47, 2, v47
	v_lshrrev_b32_e32 v30, 17, v27
	v_mul_u32_u24_e32 v27, 3, v32
	global_load_b96 v[54:56], v28, s[8:9] offset:360
	v_mul_u32_u24_e32 v29, 0x640, v29
	v_lshlrev_b32_e32 v25, 2, v25
	v_mul_u32_u24_e32 v31, 0x640, v31
	v_lshlrev_b32_e32 v27, 2, v27
	v_lshlrev_b32_e32 v32, 2, v32
	s_wait_dscnt 0x0
	v_lshrrev_b32_e32 v78, 16, v66
	v_add3_u32 v25, 0, v29, v25
	global_load_b96 v[57:59], v27, s[8:9] offset:360
	v_mul_lo_u16 v28, 0x64, v30
	v_and_b32_e32 v27, 0xffff, v41
	v_lshl_add_u32 v41, v19, 2, 0
	v_add3_u32 v31, 0, v31, v32
	v_mul_u32_u24_e32 v30, 0x640, v30
	v_sub_nc_u16 v28, v13, v28
	v_mul_u32_u24_e32 v27, 0x147b, v27
	v_lshlrev_b64_e32 v[19:20], 2, v[19:20]
	s_delay_alu instid0(VALU_DEP_3) | instskip(NEXT) | instid1(VALU_DEP_3)
	v_and_b32_e32 v50, 0xffff, v28
	v_lshrrev_b32_e32 v48, 17, v27
	s_delay_alu instid0(VALU_DEP_2) | instskip(SKIP_1) | instid1(VALU_DEP_2)
	v_mul_u32_u24_e32 v28, 3, v50
	v_lshlrev_b32_e32 v50, 2, v50
	v_lshlrev_b32_e32 v27, 2, v28
	s_delay_alu instid0(VALU_DEP_4) | instskip(SKIP_3) | instid1(VALU_DEP_2)
	v_mul_lo_u16 v28, 0x64, v48
	global_load_b96 v[60:62], v27, s[8:9] offset:360
	v_sub_nc_u16 v27, v11, v28
	v_add_nc_u32_e32 v28, 0x1100, v0
	v_and_b32_e32 v49, 0xffff, v27
	s_delay_alu instid0(VALU_DEP_1) | instskip(NEXT) | instid1(VALU_DEP_1)
	v_mul_u32_u24_e32 v27, 3, v49
	v_lshlrev_b32_e32 v27, 2, v27
	global_load_b96 v[63:65], v27, s[8:9] offset:360
	v_add_nc_u32_e32 v27, 0x1600, v0
	ds_load_b32 v46, v41
	ds_load_2addr_b32 v[68:69], v27 offset0:32 offset1:192
	ds_load_2addr_b32 v[70:71], v43 offset0:32 offset1:192
	;; [unrolled: 1-line block ×4, first 2 shown]
	ds_load_2addr_stride64_b32 v[76:77], v0 offset1:15
	ds_load_b32 v80, v42
	ds_load_b32 v81, v38
	s_wait_dscnt 0x7
	v_lshrrev_b32_e32 v82, 16, v46
	s_wait_dscnt 0x6
	v_lshrrev_b32_e32 v84, 16, v69
	;; [unrolled: 2-line block ×3, first 2 shown]
	v_lshrrev_b32_e32 v85, 16, v71
	s_wait_dscnt 0x4
	v_lshrrev_b32_e32 v86, 16, v72
	s_wait_loadcnt 0x4
	v_lshrrev_b32_e32 v79, 16, v51
	v_lshrrev_b32_e32 v83, 16, v52
	;; [unrolled: 1-line block ×3, first 2 shown]
	s_delay_alu instid0(VALU_DEP_3) | instskip(SKIP_1) | instid1(VALU_DEP_4)
	v_mul_f16_e32 v87, v79, v82
	v_mul_f16_e32 v79, v79, v46
	;; [unrolled: 1-line block ×3, first 2 shown]
	s_delay_alu instid0(VALU_DEP_3) | instskip(SKIP_1) | instid1(VALU_DEP_4)
	v_fmac_f16_e32 v87, v51, v46
	v_mul_f16_e32 v46, v83, v69
	v_fma_f16 v79, v51, v82, -v79
	v_mul_f16_e32 v51, v89, v70
	v_mul_f16_e32 v82, v89, v90
	v_fmac_f16_e32 v88, v52, v69
	v_fma_f16 v84, v52, v84, -v46
	s_wait_loadcnt 0x3
	v_lshrrev_b32_e32 v83, 16, v54
	v_lshrrev_b32_e32 v46, 16, v56
	v_fma_f16 v89, v53, v90, -v51
	s_wait_dscnt 0x2
	v_lshrrev_b32_e32 v51, 16, v77
	v_fmac_f16_e32 v82, v53, v70
	v_lshrrev_b32_e32 v52, 16, v55
	v_mul_f16_e32 v53, v85, v46
	v_mul_f16_e32 v70, v83, v77
	;; [unrolled: 1-line block ×5, first 2 shown]
	v_fmac_f16_e32 v53, v71, v56
	v_lshrrev_b32_e32 v71, 16, v67
	v_fmac_f16_e32 v69, v54, v77
	v_fma_f16 v54, v54, v51, -v70
	s_wait_loadcnt 0x2
	v_lshrrev_b32_e32 v51, 16, v58
	v_fma_f16 v77, v78, v55, -v83
	v_fma_f16 v56, v85, v56, -v46
	v_add_nc_u32_e32 v46, 0x2000, v0
	v_mul_f16_e32 v70, v78, v52
	v_mul_f16_e32 v83, v71, v51
	v_lshrrev_b32_e32 v78, 16, v57
	v_lshrrev_b32_e32 v90, 16, v73
	v_sub_f16_e32 v82, v87, v82
	v_fmac_f16_e32 v70, v66, v55
	v_fmac_f16_e32 v83, v67, v58
	v_mul_f16_e32 v67, v67, v51
	ds_load_2addr_b32 v[51:52], v46 offset0:32 offset1:192
	v_lshrrev_b32_e32 v55, 16, v74
	v_lshrrev_b32_e32 v66, 16, v59
	v_mul_f16_e32 v85, v72, v78
	v_mul_f16_e32 v78, v86, v78
	v_fma_f16 v58, v71, v58, -v67
	v_lshrrev_b32_e32 v67, 16, v75
	v_mul_f16_e32 v91, v74, v66
	v_fma_f16 v85, v86, v57, -v85
	s_wait_loadcnt 0x1
	v_lshrrev_b32_e32 v86, 16, v60
	v_mul_f16_e32 v66, v55, v66
	v_lshrrev_b32_e32 v71, 16, v62
	v_fmac_f16_e32 v78, v72, v57
	v_fma_f16 v55, v55, v59, -v91
	v_mul_f16_e32 v57, v90, v86
	v_fmac_f16_e32 v66, v74, v59
	v_mul_f16_e32 v59, v67, v71
	v_lshrrev_b32_e32 v72, 16, v61
	v_mul_f16_e32 v71, v75, v71
	v_fmac_f16_e32 v57, v73, v60
	v_mul_f16_e32 v73, v73, v86
	v_fmac_f16_e32 v59, v75, v62
	s_wait_dscnt 0x0
	v_lshrrev_b32_e32 v74, 16, v51
	v_mul_f16_e32 v86, v51, v72
	ds_load_b32 v75, v0 offset:12160
	v_fma_f16 v60, v90, v60, -v73
	v_lshrrev_b32_e32 v90, 16, v52
	v_mul_f16_e32 v72, v74, v72
	v_fma_f16 v73, v74, v61, -v86
	v_lshrrev_b32_e32 v74, 16, v68
	s_wait_loadcnt 0x0
	v_lshrrev_b32_e32 v86, 16, v63
	v_lshrrev_b32_e32 v91, 16, v64
	v_fmac_f16_e32 v72, v51, v61
	v_fma_f16 v62, v67, v62, -v71
	ds_load_b32 v71, v39
	v_mul_f16_e32 v51, v74, v86
	v_mul_f16_e32 v67, v90, v91
	;; [unrolled: 1-line block ×3, first 2 shown]
	ds_load_b32 v61, v40
	v_lshrrev_b32_e32 v92, 16, v65
	v_fmac_f16_e32 v51, v68, v63
	v_sub_f16_e32 v68, v76, v88
	v_lshrrev_b32_e32 v88, 16, v76
	v_fmac_f16_e32 v67, v52, v64
	v_mul_f16_e32 v52, v52, v91
	s_wait_dscnt 0x2
	v_lshrrev_b32_e32 v91, 16, v75
	v_fma_f16 v63, v74, v63, -v86
	v_sub_f16_e32 v74, v88, v84
	v_sub_f16_e32 v84, v79, v89
	v_fma_f16 v76, v76, 2.0, -v68
	v_mul_f16_e32 v86, v91, v92
	v_fma_f16 v87, v87, 2.0, -v82
	v_fma_f16 v88, v88, 2.0, -v74
	;; [unrolled: 1-line block ×3, first 2 shown]
	v_fma_f16 v52, v90, v64, -v52
	v_mul_f16_e32 v64, v75, v92
	v_fmac_f16_e32 v86, v75, v65
	v_sub_f16_e32 v75, v76, v87
	v_sub_f16_e32 v79, v88, v79
	s_wait_alu 0xf1ff
	v_cndmask_b32_e64 v87, 0, 0x640, s0
	v_add_f16_e32 v84, v68, v84
	v_sub_f16_e32 v82, v74, v82
	v_fma_f16 v64, v91, v65, -v64
	v_fma_f16 v65, v76, 2.0, -v75
	v_fma_f16 v76, v88, 2.0, -v79
	v_add3_u32 v47, 0, v87, v47
	s_wait_dscnt 0x0
	v_lshrrev_b32_e32 v87, 16, v61
	v_fma_f16 v68, v68, 2.0, -v84
	v_fma_f16 v74, v74, 2.0, -v82
	v_pack_b32_f16 v65, v65, v76
	v_lshrrev_b32_e32 v76, 16, v71
	v_sub_f16_e32 v70, v61, v70
	v_sub_f16_e32 v53, v69, v53
	;; [unrolled: 1-line block ×4, first 2 shown]
	v_pack_b32_f16 v68, v68, v74
	v_lshrrev_b32_e32 v74, 16, v80
	v_sub_f16_e32 v83, v71, v83
	v_sub_f16_e32 v58, v76, v58
	;; [unrolled: 1-line block ×4, first 2 shown]
	v_fma_f16 v61, v61, 2.0, -v70
	v_fma_f16 v69, v69, 2.0, -v53
	;; [unrolled: 1-line block ×4, first 2 shown]
	v_sub_f16_e32 v72, v80, v72
	v_sub_f16_e32 v59, v57, v59
	;; [unrolled: 1-line block ×4, first 2 shown]
	v_fma_f16 v71, v71, 2.0, -v83
	v_fma_f16 v76, v76, 2.0, -v58
	;; [unrolled: 1-line block ×4, first 2 shown]
	v_sub_f16_e32 v69, v61, v69
	v_sub_f16_e32 v54, v87, v54
	v_add_f16_e32 v56, v70, v56
	v_sub_f16_e32 v53, v77, v53
	v_fma_f16 v80, v80, 2.0, -v72
	v_fma_f16 v57, v57, 2.0, -v59
	v_pack_b32_f16 v75, v75, v79
	v_lshrrev_b32_e32 v79, 16, v81
	v_fma_f16 v74, v74, 2.0, -v73
	v_fma_f16 v60, v60, 2.0, -v62
	v_sub_f16_e32 v78, v71, v78
	v_sub_f16_e32 v85, v76, v85
	v_add_f16_e32 v55, v83, v55
	v_sub_f16_e32 v66, v58, v66
	v_fma_f16 v61, v61, 2.0, -v69
	v_fma_f16 v87, v87, 2.0, -v54
	;; [unrolled: 1-line block ×4, first 2 shown]
	v_sub_f16_e32 v57, v80, v57
	v_sub_f16_e32 v67, v81, v67
	;; [unrolled: 1-line block ×6, first 2 shown]
	v_add_f16_e32 v62, v72, v62
	v_sub_f16_e32 v59, v73, v59
	v_pack_b32_f16 v82, v84, v82
	v_add_nc_u32_e32 v84, 0x200, v47
	v_fma_f16 v71, v71, 2.0, -v78
	v_fma_f16 v76, v76, 2.0, -v85
	;; [unrolled: 1-line block ×12, first 2 shown]
	global_wb scope:SCOPE_SE
	s_barrier_signal -1
	s_barrier_wait -1
	global_inv scope:SCOPE_SE
	ds_store_2addr_b32 v47, v65, v68 offset1:100
	ds_store_2addr_b32 v84, v75, v82 offset0:72 offset1:172
	v_pack_b32_f16 v29, v61, v87
	v_pack_b32_f16 v47, v70, v77
	;; [unrolled: 1-line block ×4, first 2 shown]
	v_add_nc_u32_e32 v56, 0x200, v25
	v_pack_b32_f16 v32, v71, v76
	v_pack_b32_f16 v58, v83, v58
	;; [unrolled: 1-line block ×4, first 2 shown]
	v_add_nc_u32_e32 v65, 0x200, v31
	v_sub_f16_e32 v51, v81, v51
	v_sub_f16_e32 v63, v79, v63
	v_add_f16_e32 v64, v67, v64
	v_sub_f16_e32 v86, v52, v86
	ds_store_2addr_b32 v25, v29, v47 offset1:100
	ds_store_2addr_b32 v56, v54, v53 offset0:72 offset1:172
	ds_store_2addr_b32 v31, v32, v58 offset1:100
	ds_store_2addr_b32 v65, v61, v55 offset0:72 offset1:172
	v_add3_u32 v25, 0, v30, v50
	v_pack_b32_f16 v29, v80, v74
	v_pack_b32_f16 v32, v72, v73
	v_mul_u32_u24_e32 v30, 0x640, v48
	v_lshlrev_b32_e32 v31, 2, v49
	v_fma_f16 v81, v81, 2.0, -v51
	v_fma_f16 v79, v79, 2.0, -v63
	;; [unrolled: 1-line block ×4, first 2 shown]
	v_add_nc_u32_e32 v49, 0x200, v25
	ds_store_2addr_b32 v25, v29, v32 offset1:100
	v_mul_u32_u24_e32 v25, 3, v3
	v_add3_u32 v30, 0, v30, v31
	v_pack_b32_f16 v47, v57, v60
	v_pack_b32_f16 v48, v62, v59
	;; [unrolled: 1-line block ×4, first 2 shown]
	v_lshlrev_b32_e32 v32, 2, v25
	v_pack_b32_f16 v51, v51, v63
	v_pack_b32_f16 v52, v64, v86
	v_add_nc_u32_e32 v53, 0x200, v30
	v_mul_i32_i24_e32 v25, 3, v7
	ds_store_2addr_b32 v49, v47, v48 offset0:72 offset1:172
	ds_store_2addr_b32 v30, v31, v50 offset1:100
	ds_store_2addr_b32 v53, v51, v52 offset0:72 offset1:172
	v_add_nc_u32_e32 v49, 0xffffffb0, v3
	v_cmp_gt_u32_e64 s0, 0x50, v3
	global_wb scope:SCOPE_SE
	s_wait_dscnt 0x0
	s_barrier_signal -1
	s_barrier_wait -1
	global_inv scope:SCOPE_SE
	global_load_b96 v[29:31], v32, s[8:9] offset:1560
	v_lshlrev_b64_e32 v[47:48], 2, v[25:26]
	s_wait_alu 0xf1ff
	v_cndmask_b32_e64 v69, v49, v21, s0
	s_delay_alu instid0(VALU_DEP_2) | instskip(NEXT) | instid1(VALU_DEP_2)
	v_add_co_u32 v47, s0, s8, v47
	v_mul_i32_i24_e32 v25, 3, v69
	s_wait_alu 0xf1ff
	v_add_co_ci_u32_e64 v48, s0, s9, v48, s0
	s_delay_alu instid0(VALU_DEP_2)
	v_lshlrev_b64_e32 v[25:26], 2, v[25:26]
	global_load_b96 v[47:49], v[47:48], off offset:1560
	v_add_co_u32 v25, s0, s8, v25
	s_wait_alu 0xf1ff
	v_add_co_ci_u32_e64 v26, s0, s9, v26, s0
	s_clause 0x2
	global_load_b96 v[50:52], v[25:26], off offset:1560
	global_load_b96 v[53:55], v32, s[8:9] offset:2520
	global_load_b96 v[56:58], v32, s[8:9] offset:4440
	ds_load_2addr_b32 v[25:26], v44 offset0:32 offset1:192
	ds_load_2addr_b32 v[59:60], v43 offset0:32 offset1:192
	;; [unrolled: 1-line block ×3, first 2 shown]
	ds_load_b32 v32, v41
	ds_load_2addr_b32 v[27:28], v27 offset0:32 offset1:192
	ds_load_2addr_b32 v[63:64], v45 offset0:32 offset1:192
	;; [unrolled: 1-line block ×3, first 2 shown]
	ds_load_b32 v70, v0 offset:12160
	ds_load_b32 v71, v42
	ds_load_b32 v72, v40
	;; [unrolled: 1-line block ×4, first 2 shown]
	ds_load_2addr_stride64_b32 v[67:68], v0 offset1:15
	v_cmp_lt_u32_e64 s0, 0x4f, v3
	global_wb scope:SCOPE_SE
	s_wait_loadcnt_dscnt 0x0
	s_barrier_signal -1
	s_barrier_wait -1
	global_inv scope:SCOPE_SE
	v_lshrrev_b32_e32 v75, 16, v25
	v_lshrrev_b32_e32 v88, 16, v59
	;; [unrolled: 1-line block ×12, first 2 shown]
	s_delay_alu instid0(VALU_DEP_3) | instskip(SKIP_1) | instid1(VALU_DEP_4)
	v_mul_f16_e32 v85, v79, v80
	v_mul_f16_e32 v79, v79, v32
	;; [unrolled: 1-line block ×3, first 2 shown]
	s_delay_alu instid0(VALU_DEP_3) | instskip(SKIP_1) | instid1(VALU_DEP_4)
	v_fmac_f16_e32 v85, v29, v32
	v_mul_f16_e32 v32, v81, v28
	v_fma_f16 v29, v29, v80, -v79
	v_mul_f16_e32 v79, v87, v59
	v_mul_f16_e32 v80, v87, v88
	v_lshrrev_b32_e32 v81, 16, v47
	v_fma_f16 v32, v30, v82, -v32
	v_lshrrev_b32_e32 v82, 16, v49
	v_lshrrev_b32_e32 v87, 16, v68
	v_fmac_f16_e32 v86, v30, v28
	v_lshrrev_b32_e32 v30, 16, v48
	v_fma_f16 v79, v31, v88, -v79
	v_fmac_f16_e32 v80, v31, v59
	v_mul_f16_e32 v28, v76, v82
	v_mul_f16_e32 v31, v81, v87
	;; [unrolled: 1-line block ×6, first 2 shown]
	v_fmac_f16_e32 v31, v47, v68
	v_fma_f16 v47, v47, v87, -v59
	v_lshrrev_b32_e32 v59, 16, v50
	v_fmac_f16_e32 v82, v25, v48
	v_fma_f16 v25, v75, v48, -v30
	v_lshrrev_b32_e32 v30, 16, v51
	v_fmac_f16_e32 v28, v60, v49
	v_fma_f16 v48, v76, v49, -v81
	v_mul_f16_e32 v49, v61, v59
	v_mul_f16_e32 v59, v77, v59
	v_mul_f16_e32 v75, v78, v30
	v_lshrrev_b32_e32 v76, 16, v52
	v_mul_f16_e32 v30, v26, v30
	v_lshrrev_b32_e32 v60, 16, v65
	v_fma_f16 v49, v77, v50, -v49
	v_fmac_f16_e32 v59, v61, v50
	v_fmac_f16_e32 v75, v26, v51
	v_mul_f16_e32 v26, v83, v76
	v_mul_f16_e32 v50, v63, v76
	v_lshrrev_b32_e32 v61, 16, v53
	v_fma_f16 v30, v78, v51, -v30
	v_lshrrev_b32_e32 v51, 16, v54
	v_lshrrev_b32_e32 v68, 16, v64
	v_fmac_f16_e32 v26, v63, v52
	v_fma_f16 v50, v83, v52, -v50
	v_mul_f16_e32 v52, v84, v61
	v_mul_f16_e32 v61, v62, v61
	;; [unrolled: 1-line block ×3, first 2 shown]
	v_lshrrev_b32_e32 v78, 16, v55
	v_mul_f16_e32 v51, v65, v51
	v_lshrrev_b32_e32 v77, 16, v27
	v_lshrrev_b32_e32 v63, 16, v66
	v_fmac_f16_e32 v52, v62, v53
	v_fma_f16 v53, v84, v53, -v61
	v_fmac_f16_e32 v76, v65, v54
	v_mul_f16_e32 v61, v68, v78
	v_lshrrev_b32_e32 v65, 16, v56
	v_fma_f16 v51, v60, v54, -v51
	v_lshrrev_b32_e32 v54, 16, v57
	v_mul_f16_e32 v60, v64, v78
	v_fmac_f16_e32 v61, v64, v55
	v_mul_f16_e32 v64, v77, v65
	v_mul_f16_e32 v65, v27, v65
	;; [unrolled: 1-line block ×3, first 2 shown]
	v_lshrrev_b32_e32 v62, 16, v70
	v_fma_f16 v55, v68, v55, -v60
	v_lshrrev_b32_e32 v60, 16, v58
	v_fmac_f16_e32 v64, v27, v56
	v_fma_f16 v27, v77, v56, -v65
	v_fmac_f16_e32 v78, v66, v57
	v_mul_f16_e32 v54, v66, v54
	v_sub_f16_e32 v65, v67, v86
	v_sub_f16_e32 v66, v85, v80
	v_lshrrev_b32_e32 v56, 16, v67
	v_mul_f16_e32 v68, v62, v60
	v_mul_f16_e32 v60, v70, v60
	v_sub_f16_e32 v77, v29, v79
	v_fma_f16 v67, v67, 2.0, -v65
	v_fma_f16 v79, v85, 2.0, -v66
	v_sub_f16_e32 v32, v56, v32
	v_fma_f16 v54, v63, v57, -v54
	v_fmac_f16_e32 v68, v70, v58
	v_fma_f16 v58, v62, v58, -v60
	v_lshrrev_b32_e32 v60, 16, v72
	v_sub_f16_e32 v63, v72, v82
	v_sub_f16_e32 v57, v67, v79
	v_fma_f16 v56, v56, 2.0, -v32
	v_fma_f16 v29, v29, 2.0, -v77
	v_sub_f16_e32 v28, v31, v28
	v_sub_f16_e32 v25, v60, v25
	;; [unrolled: 1-line block ×3, first 2 shown]
	v_fma_f16 v70, v72, 2.0, -v63
	v_lshrrev_b32_e32 v72, 16, v74
	v_fma_f16 v62, v67, 2.0, -v57
	v_add_f16_e32 v67, v65, v77
	v_lshrrev_b32_e32 v77, 16, v71
	v_lshrrev_b32_e32 v79, 16, v73
	v_sub_f16_e32 v29, v56, v29
	v_fma_f16 v31, v31, 2.0, -v28
	v_fma_f16 v60, v60, 2.0, -v25
	;; [unrolled: 1-line block ×3, first 2 shown]
	v_sub_f16_e32 v75, v74, v75
	v_sub_f16_e32 v26, v59, v26
	;; [unrolled: 1-line block ×13, first 2 shown]
	v_fma_f16 v56, v56, 2.0, -v29
	v_sub_f16_e32 v31, v70, v31
	v_sub_f16_e32 v47, v60, v47
	v_fma_f16 v74, v74, 2.0, -v75
	v_fma_f16 v59, v59, 2.0, -v26
	;; [unrolled: 1-line block ×6, first 2 shown]
	v_add_f16_e32 v48, v63, v48
	v_sub_f16_e32 v28, v25, v28
	v_fma_f16 v71, v71, 2.0, -v76
	v_fma_f16 v52, v52, 2.0, -v61
	;; [unrolled: 1-line block ×10, first 2 shown]
	v_sub_f16_e32 v59, v74, v59
	v_sub_f16_e32 v49, v72, v49
	v_pack_b32_f16 v56, v62, v56
	v_fma_f16 v63, v63, 2.0, -v48
	v_fma_f16 v25, v25, 2.0, -v28
	v_add_f16_e32 v50, v75, v50
	v_sub_f16_e32 v26, v30, v26
	v_pack_b32_f16 v32, v65, v32
	v_pack_b32_f16 v29, v57, v29
	;; [unrolled: 1-line block ×3, first 2 shown]
	v_sub_f16_e32 v52, v71, v52
	v_sub_f16_e32 v53, v77, v53
	;; [unrolled: 1-line block ×4, first 2 shown]
	v_fma_f16 v74, v74, 2.0, -v59
	v_fma_f16 v72, v72, 2.0, -v49
	v_add_f16_e32 v55, v76, v55
	v_sub_f16_e32 v61, v51, v61
	v_add_f16_e32 v58, v78, v58
	v_sub_f16_e32 v68, v54, v68
	ds_store_b32 v0, v56
	ds_store_b32 v0, v32 offset:1600
	ds_store_b32 v0, v29 offset:3200
	;; [unrolled: 1-line block ×3, first 2 shown]
	v_pack_b32_f16 v29, v70, v60
	v_pack_b32_f16 v31, v31, v47
	s_wait_alu 0xf1ff
	v_cndmask_b32_e64 v32, 0, 0x1900, s0
	v_lshlrev_b32_e32 v47, 2, v69
	v_fma_f16 v75, v75, 2.0, -v50
	v_fma_f16 v30, v30, 2.0, -v26
	v_pack_b32_f16 v25, v63, v25
	v_pack_b32_f16 v28, v48, v28
	v_fma_f16 v71, v71, 2.0, -v52
	v_fma_f16 v77, v77, 2.0, -v53
	;; [unrolled: 1-line block ×8, first 2 shown]
	ds_store_b32 v40, v29
	ds_store_b32 v40, v25 offset:1600
	ds_store_b32 v40, v31 offset:3200
	;; [unrolled: 1-line block ×3, first 2 shown]
	v_add3_u32 v25, 0, v32, v47
	v_pack_b32_f16 v28, v74, v72
	v_pack_b32_f16 v29, v75, v30
	;; [unrolled: 1-line block ×6, first 2 shown]
	v_add_nc_u32_e32 v50, 0x1a00, v0
	v_pack_b32_f16 v32, v76, v51
	v_pack_b32_f16 v47, v52, v53
	;; [unrolled: 1-line block ×5, first 2 shown]
	v_add_nc_u32_e32 v52, 0x2600, v0
	v_pack_b32_f16 v53, v58, v68
	ds_store_b32 v25, v28
	ds_store_b32 v25, v29 offset:1600
	ds_store_b32 v25, v30 offset:3200
	;; [unrolled: 1-line block ×3, first 2 shown]
	ds_store_2addr_b32 v50, v31, v49 offset0:16 offset1:176
	ds_store_2addr_b32 v46, v32, v51 offset0:32 offset1:192
	ds_store_2addr_b32 v52, v47, v27 offset0:48 offset1:208
	ds_store_2addr_b32 v37, v48, v53 offset0:64 offset1:224
	v_lshlrev_b64_e32 v[25:26], 2, v[3:4]
	v_lshlrev_b64_e32 v[27:28], 2, v[7:8]
	;; [unrolled: 1-line block ×4, first 2 shown]
	global_wb scope:SCOPE_SE
	s_wait_dscnt 0x0
	s_barrier_signal -1
	v_add_co_u32 v29, s0, s8, v25
	s_wait_alu 0xf1ff
	v_add_co_ci_u32_e64 v30, s0, s9, v26, s0
	v_add_co_u32 v27, s0, s8, v27
	s_wait_alu 0xf1ff
	v_add_co_ci_u32_e64 v28, s0, s9, v28, s0
	;; [unrolled: 3-line block ×3, first 2 shown]
	v_lshlrev_b64_e32 v[25:26], 2, v[9:10]
	v_add_co_u32 v21, s0, s8, v31
	s_wait_alu 0xf1ff
	v_add_co_ci_u32_e64 v22, s0, s9, v32, s0
	v_add_co_u32 v31, s0, s8, v47
	s_wait_alu 0xf1ff
	v_add_co_ci_u32_e64 v32, s0, s9, v48, s0
	v_add_co_u32 v25, s0, s8, v25
	s_barrier_wait -1
	global_inv scope:SCOPE_SE
	s_wait_alu 0xf1ff
	v_add_co_ci_u32_e64 v26, s0, s9, v26, s0
	s_clause 0x5
	global_load_b32 v37, v[23:24], off offset:6360
	global_load_b32 v53, v[21:22], off offset:6360
	;; [unrolled: 1-line block ×6, first 2 shown]
	v_lshlrev_b64_e32 v[16:17], 2, v[17:18]
	v_add_co_u32 v18, s0, s8, v19
	v_lshlrev_b64_e32 v[10:11], 2, v[11:12]
	s_wait_alu 0xf1ff
	v_add_co_ci_u32_e64 v19, s0, s9, v20, s0
	s_delay_alu instid0(VALU_DEP_4)
	v_add_co_u32 v16, s0, s8, v16
	v_lshlrev_b64_e32 v[12:13], 2, v[13:14]
	s_wait_alu 0xf1ff
	v_add_co_ci_u32_e64 v17, s0, s9, v17, s0
	v_add_co_u32 v10, s0, s8, v10
	s_wait_alu 0xf1ff
	v_add_co_ci_u32_e64 v11, s0, s9, v11, s0
	s_clause 0x1
	global_load_b32 v20, v[18:19], off offset:6360
	global_load_b32 v58, v[16:17], off offset:6360
	v_add_co_u32 v12, s0, s8, v12
	s_wait_alu 0xf1ff
	v_add_co_ci_u32_e64 v13, s0, s9, v13, s0
	s_clause 0x1
	global_load_b32 v59, v[10:11], off offset:6360
	global_load_b32 v60, v[12:13], off offset:6360
	v_lshl_add_u32 v4, v15, 2, 0
	ds_load_b32 v61, v33
	ds_load_2addr_b32 v[14:15], v45 offset0:32 offset1:192
	ds_load_b32 v62, v4
	ds_load_b32 v63, v0 offset:12160
	v_lshl_add_u32 v8, v9, 2, 0
	ds_load_2addr_b32 v[44:45], v44 offset0:32 offset1:192
	ds_load_2addr_stride64_b32 v[47:48], v0 offset1:25
	ds_load_b32 v9, v8
	ds_load_b32 v64, v42
	ds_load_b32 v65, v41
	ds_load_b32 v66, v34
	ds_load_b32 v67, v38
	ds_load_b32 v68, v39
	ds_load_b32 v69, v40
	ds_load_2addr_b32 v[49:50], v46 offset0:32 offset1:192
	ds_load_2addr_b32 v[51:52], v43 offset0:32 offset1:192
	global_wb scope:SCOPE_SE
	s_wait_loadcnt_dscnt 0x0
	s_barrier_signal -1
	s_barrier_wait -1
	global_inv scope:SCOPE_SE
	v_cmp_ne_u32_e64 s0, 0, v3
	v_lshrrev_b32_e32 v43, 16, v61
	v_lshrrev_b32_e32 v46, 16, v15
	;; [unrolled: 1-line block ×6, first 2 shown]
	v_pk_mul_f16 v74, v55, v44 op_sel:[0,1]
	v_pk_mul_f16 v75, v56, v48 op_sel:[0,1]
	s_delay_alu instid0(VALU_DEP_4)
	v_mul_f16_e32 v77, v46, v72
	v_mul_f16_e32 v72, v15, v72
	;; [unrolled: 1-line block ×3, first 2 shown]
	v_pk_fma_f16 v79, v55, v44, v74 op_sel:[0,0,1] op_sel_hi:[1,1,0]
	v_pk_fma_f16 v44, v55, v44, v74 op_sel:[0,0,1] op_sel_hi:[1,0,0] neg_lo:[1,0,0] neg_hi:[1,0,0]
	v_pk_fma_f16 v55, v56, v48, v75 op_sel:[0,0,1] op_sel_hi:[1,1,0]
	v_pk_fma_f16 v48, v56, v48, v75 op_sel:[0,0,1] op_sel_hi:[1,0,0] neg_lo:[1,0,0] neg_hi:[1,0,0]
	v_fmac_f16_e32 v77, v15, v37
	v_mul_f16_e32 v73, v63, v73
	v_pk_mul_f16 v76, v14, v57 op_sel:[0,1]
	v_fma_f16 v15, v46, v37, -v72
	v_fmac_f16_e32 v78, v63, v53
	v_bfi_b32 v44, 0xffff, v79, v44
	v_bfi_b32 v46, 0xffff, v55, v48
	v_sub_f16_e32 v48, v61, v77
	v_fma_f16 v37, v71, v53, -v73
	v_pk_fma_f16 v56, v14, v57, v76 op_sel:[0,0,1] op_sel_hi:[1,1,0]
	v_pk_fma_f16 v14, v14, v57, v76 op_sel:[0,0,1] op_sel_hi:[1,0,0] neg_lo:[0,0,1] neg_hi:[0,0,1]
	v_sub_f16_e32 v53, v62, v78
	v_fma_f16 v55, v61, 2.0, -v48
	v_pk_add_f16 v44, v69, v44 neg_lo:[0,1] neg_hi:[0,1]
	v_pk_mul_f16 v61, v52, v58 op_sel:[0,1]
	v_pk_mul_f16 v63, v51, v20 op_sel:[0,1]
	v_sub_f16_e32 v37, v70, v37
	v_bfi_b32 v14, 0xffff, v56, v14
	v_fma_f16 v56, v62, 2.0, -v53
	v_pk_fma_f16 v62, v69, 2.0, v44 op_sel_hi:[1,0,1] neg_lo:[0,0,1] neg_hi:[0,0,1]
	v_pk_fma_f16 v69, v52, v58, v61 op_sel:[0,0,1] op_sel_hi:[1,1,0]
	v_pk_fma_f16 v52, v52, v58, v61 op_sel:[0,0,1] op_sel_hi:[1,0,0] neg_lo:[0,0,1] neg_hi:[0,0,1]
	v_pk_mul_f16 v58, v50, v59 op_sel:[0,1]
	v_pk_fma_f16 v61, v51, v20, v63 op_sel:[0,0,1] op_sel_hi:[1,1,0]
	v_pk_fma_f16 v20, v51, v20, v63 op_sel:[0,0,1] op_sel_hi:[1,0,0] neg_lo:[0,0,1] neg_hi:[0,0,1]
	v_pk_mul_f16 v51, v54, v45 op_sel:[0,1]
	v_fma_f16 v57, v70, 2.0, -v37
	v_pk_mul_f16 v70, v60, v49 op_sel:[0,1]
	v_pk_fma_f16 v63, v50, v59, v58 op_sel:[0,0,1] op_sel_hi:[1,1,0]
	v_pk_fma_f16 v50, v50, v59, v58 op_sel:[0,0,1] op_sel_hi:[1,0,0] neg_lo:[0,0,1] neg_hi:[0,0,1]
	v_pk_fma_f16 v59, v54, v45, v51 op_sel:[0,0,1] op_sel_hi:[1,1,0]
	v_pk_fma_f16 v45, v54, v45, v51 op_sel:[0,0,1] op_sel_hi:[1,0,0] neg_lo:[1,0,0] neg_hi:[1,0,0]
	;; [unrolled: 2-line block ×3, first 2 shown]
	v_bfi_b32 v20, 0xffff, v61, v20
	v_bfi_b32 v51, 0xffff, v69, v52
	;; [unrolled: 1-line block ×5, first 2 shown]
	v_sub_f16_e32 v15, v43, v15
	v_pk_add_f16 v46, v47, v46 neg_lo:[0,1] neg_hi:[0,1]
	v_pk_add_f16 v20, v65, v20 neg_lo:[0,1] neg_hi:[0,1]
	;; [unrolled: 1-line block ×7, first 2 shown]
	v_fma_f16 v43, v43, 2.0, -v15
	v_pk_fma_f16 v47, v47, 2.0, v46 op_sel_hi:[1,0,1] neg_lo:[0,0,1] neg_hi:[0,0,1]
	v_pk_fma_f16 v54, v65, 2.0, v20 op_sel_hi:[1,0,1] neg_lo:[0,0,1] neg_hi:[0,0,1]
	v_pk_fma_f16 v60, v68, 2.0, v45 op_sel_hi:[1,0,1] neg_lo:[0,0,1] neg_hi:[0,0,1]
	v_pk_fma_f16 v52, v66, 2.0, v51 op_sel_hi:[1,0,1] neg_lo:[0,0,1] neg_hi:[0,0,1]
	v_pk_fma_f16 v59, v64, 2.0, v49 op_sel_hi:[1,0,1] neg_lo:[0,0,1] neg_hi:[0,0,1]
	v_pk_fma_f16 v9, v9, 2.0, v14 op_sel_hi:[1,0,1] neg_lo:[0,0,1] neg_hi:[0,0,1]
	v_pk_fma_f16 v58, v67, 2.0, v50 op_sel_hi:[1,0,1] neg_lo:[0,0,1] neg_hi:[0,0,1]
	ds_store_2addr_stride64_b32 v0, v47, v46 offset1:25
	ds_store_2addr_stride64_b32 v40, v62, v44 offset1:25
	;; [unrolled: 1-line block ×5, first 2 shown]
	v_pack_b32_f16 v40, v55, v43
	v_pack_b32_f16 v15, v48, v15
	;; [unrolled: 1-line block ×4, first 2 shown]
	ds_store_2addr_stride64_b32 v41, v54, v20 offset1:25
	ds_store_2addr_stride64_b32 v34, v52, v51 offset1:25
	;; [unrolled: 1-line block ×5, first 2 shown]
	global_wb scope:SCOPE_SE
	s_wait_dscnt 0x0
	s_barrier_signal -1
	s_barrier_wait -1
	global_inv scope:SCOPE_SE
	ds_load_b32 v37, v0
	v_sub_nc_u32_e32 v9, 0, v36
                                        ; implicit-def: $vgpr20
                                        ; implicit-def: $vgpr15
                                        ; implicit-def: $vgpr14
	s_and_saveexec_b32 s1, s0
	s_wait_alu 0xfffe
	s_xor_b32 s0, exec_lo, s1
	s_cbranch_execz .LBB0_15
; %bb.14:
	global_load_b32 v14, v[29:30], off offset:12760
	ds_load_b32 v15, v9 offset:12800
	s_wait_dscnt 0x0
	v_pk_add_f16 v20, v37, v15 neg_lo:[0,1] neg_hi:[0,1]
	v_pk_add_f16 v15, v15, v37
	s_delay_alu instid0(VALU_DEP_1) | instskip(SKIP_1) | instid1(VALU_DEP_2)
	v_bfi_b32 v29, 0xffff, v20, v15
	v_bfi_b32 v15, 0xffff, v15, v20
	v_pk_mul_f16 v29, v29, 0.5 op_sel_hi:[1,0]
	s_delay_alu instid0(VALU_DEP_2) | instskip(SKIP_1) | instid1(VALU_DEP_2)
	v_pk_mul_f16 v30, v15, 0.5 op_sel_hi:[1,0]
	s_wait_loadcnt 0x0
	v_pk_mul_f16 v20, v14, v29 op_sel:[1,0]
	v_pk_mul_f16 v14, v14, v29 op_sel_hi:[0,1]
	s_delay_alu instid0(VALU_DEP_3) | instskip(NEXT) | instid1(VALU_DEP_3)
	v_lshrrev_b32_e32 v29, 16, v30
	v_pk_fma_f16 v15, v15, 0.5, v20 op_sel_hi:[1,0,1]
	v_lshrrev_b32_e32 v36, 16, v20
	v_sub_f16_e32 v20, v30, v20
	v_lshrrev_b32_e32 v30, 16, v14
	s_delay_alu instid0(VALU_DEP_4) | instskip(SKIP_2) | instid1(VALU_DEP_4)
	v_pk_add_f16 v37, v15, v14 op_sel:[0,1] op_sel_hi:[1,0]
	v_pk_add_f16 v40, v15, v14 op_sel:[0,1] op_sel_hi:[1,0] neg_lo:[0,1] neg_hi:[0,1]
	v_sub_f16_e32 v29, v36, v29
	v_sub_f16_e32 v15, v20, v30
	s_delay_alu instid0(VALU_DEP_3) | instskip(NEXT) | instid1(VALU_DEP_3)
	v_bfi_b32 v20, 0xffff, v37, v40
	v_sub_f16_e32 v14, v29, v14
                                        ; implicit-def: $vgpr37
.LBB0_15:
	s_wait_alu 0xfffe
	s_or_saveexec_b32 s0, s0
	v_mul_i32_i24_e32 v7, 0xffffffdc, v7
	s_wait_alu 0xfffe
	s_xor_b32 exec_lo, exec_lo, s0
	s_cbranch_execz .LBB0_17
; %bb.16:
	v_mov_b32_e32 v14, 0
	s_wait_dscnt 0x0
	v_alignbit_b32 v15, s0, v37, 16
	v_lshrrev_b32_e32 v29, 16, v37
	ds_load_u16 v20, v14 offset:6402
	v_pk_add_f16 v30, v15, v37
	v_sub_f16_e32 v15, v37, v29
	s_wait_dscnt 0x0
	v_xor_b32_e32 v29, 0x8000, v20
	s_delay_alu instid0(VALU_DEP_3)
	v_pack_b32_f16 v20, v30, 0
	ds_store_b16 v14, v29 offset:6402
.LBB0_17:
	s_or_b32 exec_lo, exec_lo, s0
	s_clause 0x4
	global_load_b32 v27, v[27:28], off offset:12760
	global_load_b32 v28, v[31:32], off offset:12760
	;; [unrolled: 1-line block ×5, first 2 shown]
	v_add_nc_u32_e32 v7, v35, v7
	ds_store_b16 v9, v14 offset:12802
	ds_store_b32 v0, v20
	ds_store_b16 v9, v15 offset:12800
	ds_load_b32 v0, v7
	ds_load_b32 v13, v9 offset:12160
	global_load_b32 v14, v[16:17], off offset:12760
	s_wait_dscnt 0x0
	v_pk_add_f16 v15, v0, v13 neg_lo:[0,1] neg_hi:[0,1]
	v_pk_add_f16 v0, v0, v13
	s_delay_alu instid0(VALU_DEP_1)
	v_bfi_b32 v13, 0xffff, v15, v0
	v_bfi_b32 v0, 0xffff, v0, v15
	s_clause 0x1
	global_load_b32 v15, v[25:26], off offset:12760
	global_load_b32 v16, v[23:24], off offset:12760
	v_pk_mul_f16 v13, v13, 0.5 op_sel_hi:[1,0]
	v_pk_mul_f16 v0, v0, 0.5 op_sel_hi:[1,0]
	s_wait_loadcnt 0x7
	s_delay_alu instid0(VALU_DEP_1) | instskip(SKIP_3) | instid1(VALU_DEP_3)
	v_pk_fma_f16 v17, v27, v13, v0 op_sel:[1,0,0]
	v_pk_mul_f16 v18, v27, v13 op_sel_hi:[0,1]
	v_pk_fma_f16 v19, v27, v13, v0 op_sel:[1,0,0] neg_lo:[1,0,0] neg_hi:[1,0,0]
	v_pk_fma_f16 v0, v27, v13, v0 op_sel:[1,0,0] neg_lo:[0,0,1] neg_hi:[0,0,1]
	v_pk_add_f16 v13, v17, v18 op_sel:[0,1] op_sel_hi:[1,0]
	v_pk_add_f16 v17, v17, v18 op_sel:[0,1] op_sel_hi:[1,0] neg_lo:[0,1] neg_hi:[0,1]
	s_delay_alu instid0(VALU_DEP_4) | instskip(NEXT) | instid1(VALU_DEP_4)
	v_pk_add_f16 v19, v19, v18 op_sel:[0,1] op_sel_hi:[1,0] neg_lo:[0,1] neg_hi:[0,1]
	v_pk_add_f16 v0, v0, v18 op_sel:[0,1] op_sel_hi:[1,0] neg_lo:[0,1] neg_hi:[0,1]
	s_delay_alu instid0(VALU_DEP_3) | instskip(NEXT) | instid1(VALU_DEP_2)
	v_bfi_b32 v13, 0xffff, v13, v17
	v_bfi_b32 v0, 0xffff, v19, v0
	ds_store_b32 v7, v13
	ds_store_b32 v9, v0 offset:12160
	ds_load_b32 v0, v39
	ds_load_b32 v7, v9 offset:11520
	s_wait_dscnt 0x0
	v_pk_add_f16 v13, v0, v7 neg_lo:[0,1] neg_hi:[0,1]
	v_pk_add_f16 v0, v0, v7
	s_delay_alu instid0(VALU_DEP_1) | instskip(SKIP_1) | instid1(VALU_DEP_2)
	v_bfi_b32 v7, 0xffff, v13, v0
	v_bfi_b32 v0, 0xffff, v0, v13
	v_pk_mul_f16 v7, v7, 0.5 op_sel_hi:[1,0]
	s_delay_alu instid0(VALU_DEP_2) | instskip(SKIP_1) | instid1(VALU_DEP_2)
	v_pk_mul_f16 v0, v0, 0.5 op_sel_hi:[1,0]
	s_wait_loadcnt 0x6
	v_pk_mul_f16 v17, v28, v7 op_sel_hi:[0,1]
	s_delay_alu instid0(VALU_DEP_2) | instskip(SKIP_2) | instid1(VALU_DEP_3)
	v_pk_fma_f16 v13, v28, v7, v0 op_sel:[1,0,0]
	v_pk_fma_f16 v18, v28, v7, v0 op_sel:[1,0,0] neg_lo:[1,0,0] neg_hi:[1,0,0]
	v_pk_fma_f16 v0, v28, v7, v0 op_sel:[1,0,0] neg_lo:[0,0,1] neg_hi:[0,0,1]
	v_pk_add_f16 v7, v13, v17 op_sel:[0,1] op_sel_hi:[1,0]
	v_pk_add_f16 v13, v13, v17 op_sel:[0,1] op_sel_hi:[1,0] neg_lo:[0,1] neg_hi:[0,1]
	s_delay_alu instid0(VALU_DEP_4) | instskip(NEXT) | instid1(VALU_DEP_4)
	v_pk_add_f16 v18, v18, v17 op_sel:[0,1] op_sel_hi:[1,0] neg_lo:[0,1] neg_hi:[0,1]
	v_pk_add_f16 v0, v0, v17 op_sel:[0,1] op_sel_hi:[1,0] neg_lo:[0,1] neg_hi:[0,1]
	s_delay_alu instid0(VALU_DEP_3) | instskip(NEXT) | instid1(VALU_DEP_2)
	v_bfi_b32 v7, 0xffff, v7, v13
	v_bfi_b32 v0, 0xffff, v18, v0
	ds_store_b32 v39, v7
	ds_store_b32 v9, v0 offset:11520
	ds_load_b32 v0, v42
	ds_load_b32 v7, v9 offset:10880
	s_wait_dscnt 0x0
	v_pk_add_f16 v13, v0, v7 neg_lo:[0,1] neg_hi:[0,1]
	v_pk_add_f16 v0, v0, v7
	s_delay_alu instid0(VALU_DEP_1) | instskip(SKIP_1) | instid1(VALU_DEP_2)
	v_bfi_b32 v7, 0xffff, v13, v0
	v_bfi_b32 v0, 0xffff, v0, v13
	v_pk_mul_f16 v7, v7, 0.5 op_sel_hi:[1,0]
	s_delay_alu instid0(VALU_DEP_2) | instskip(SKIP_1) | instid1(VALU_DEP_2)
	v_pk_mul_f16 v0, v0, 0.5 op_sel_hi:[1,0]
	s_wait_loadcnt 0x5
	v_pk_mul_f16 v17, v12, v7 op_sel_hi:[0,1]
	s_delay_alu instid0(VALU_DEP_2) | instskip(SKIP_2) | instid1(VALU_DEP_3)
	v_pk_fma_f16 v13, v12, v7, v0 op_sel:[1,0,0]
	v_pk_fma_f16 v18, v12, v7, v0 op_sel:[1,0,0] neg_lo:[1,0,0] neg_hi:[1,0,0]
	v_pk_fma_f16 v0, v12, v7, v0 op_sel:[1,0,0] neg_lo:[0,0,1] neg_hi:[0,0,1]
	v_pk_add_f16 v7, v13, v17 op_sel:[0,1] op_sel_hi:[1,0]
	v_pk_add_f16 v12, v13, v17 op_sel:[0,1] op_sel_hi:[1,0] neg_lo:[0,1] neg_hi:[0,1]
	s_delay_alu instid0(VALU_DEP_4) | instskip(NEXT) | instid1(VALU_DEP_4)
	v_pk_add_f16 v13, v18, v17 op_sel:[0,1] op_sel_hi:[1,0] neg_lo:[0,1] neg_hi:[0,1]
	v_pk_add_f16 v0, v0, v17 op_sel:[0,1] op_sel_hi:[1,0] neg_lo:[0,1] neg_hi:[0,1]
	s_delay_alu instid0(VALU_DEP_3) | instskip(NEXT) | instid1(VALU_DEP_2)
	v_bfi_b32 v7, 0xffff, v7, v12
	v_bfi_b32 v0, 0xffff, v13, v0
	ds_store_b32 v42, v7
	ds_store_b32 v9, v0 offset:10880
	ds_load_b32 v0, v38
	ds_load_b32 v7, v9 offset:10240
	global_load_b32 v12, v[21:22], off offset:12760
	s_wait_dscnt 0x0
	v_pk_add_f16 v13, v0, v7 neg_lo:[0,1] neg_hi:[0,1]
	v_pk_add_f16 v0, v0, v7
	s_delay_alu instid0(VALU_DEP_1) | instskip(SKIP_1) | instid1(VALU_DEP_2)
	v_bfi_b32 v7, 0xffff, v13, v0
	v_bfi_b32 v0, 0xffff, v0, v13
	v_pk_mul_f16 v7, v7, 0.5 op_sel_hi:[1,0]
	s_delay_alu instid0(VALU_DEP_2) | instskip(SKIP_1) | instid1(VALU_DEP_2)
	v_pk_mul_f16 v0, v0, 0.5 op_sel_hi:[1,0]
	s_wait_loadcnt 0x5
	v_pk_mul_f16 v17, v10, v7 op_sel_hi:[0,1]
	s_delay_alu instid0(VALU_DEP_2) | instskip(SKIP_2) | instid1(VALU_DEP_3)
	v_pk_fma_f16 v13, v10, v7, v0 op_sel:[1,0,0]
	v_pk_fma_f16 v18, v10, v7, v0 op_sel:[1,0,0] neg_lo:[1,0,0] neg_hi:[1,0,0]
	v_pk_fma_f16 v0, v10, v7, v0 op_sel:[1,0,0] neg_lo:[0,0,1] neg_hi:[0,0,1]
	v_pk_add_f16 v7, v13, v17 op_sel:[0,1] op_sel_hi:[1,0]
	v_pk_add_f16 v10, v13, v17 op_sel:[0,1] op_sel_hi:[1,0] neg_lo:[0,1] neg_hi:[0,1]
	s_delay_alu instid0(VALU_DEP_4) | instskip(NEXT) | instid1(VALU_DEP_4)
	v_pk_add_f16 v13, v18, v17 op_sel:[0,1] op_sel_hi:[1,0] neg_lo:[0,1] neg_hi:[0,1]
	v_pk_add_f16 v0, v0, v17 op_sel:[0,1] op_sel_hi:[1,0] neg_lo:[0,1] neg_hi:[0,1]
	s_delay_alu instid0(VALU_DEP_3) | instskip(NEXT) | instid1(VALU_DEP_2)
	v_bfi_b32 v7, 0xffff, v7, v10
	v_bfi_b32 v0, 0xffff, v13, v0
	ds_store_b32 v38, v7
	ds_store_b32 v9, v0 offset:10240
	ds_load_b32 v0, v41
	ds_load_b32 v7, v9 offset:9600
	s_wait_dscnt 0x0
	v_pk_add_f16 v10, v0, v7 neg_lo:[0,1] neg_hi:[0,1]
	v_pk_add_f16 v0, v0, v7
	s_delay_alu instid0(VALU_DEP_1) | instskip(SKIP_1) | instid1(VALU_DEP_2)
	v_bfi_b32 v7, 0xffff, v10, v0
	v_bfi_b32 v0, 0xffff, v0, v10
	v_pk_mul_f16 v7, v7, 0.5 op_sel_hi:[1,0]
	s_delay_alu instid0(VALU_DEP_2) | instskip(SKIP_1) | instid1(VALU_DEP_2)
	v_pk_mul_f16 v0, v0, 0.5 op_sel_hi:[1,0]
	s_wait_loadcnt 0x4
	v_pk_mul_f16 v13, v11, v7 op_sel_hi:[0,1]
	s_delay_alu instid0(VALU_DEP_2) | instskip(SKIP_2) | instid1(VALU_DEP_3)
	v_pk_fma_f16 v10, v11, v7, v0 op_sel:[1,0,0]
	v_pk_fma_f16 v17, v11, v7, v0 op_sel:[1,0,0] neg_lo:[1,0,0] neg_hi:[1,0,0]
	v_pk_fma_f16 v0, v11, v7, v0 op_sel:[1,0,0] neg_lo:[0,0,1] neg_hi:[0,0,1]
	v_pk_add_f16 v7, v10, v13 op_sel:[0,1] op_sel_hi:[1,0]
	v_pk_add_f16 v10, v10, v13 op_sel:[0,1] op_sel_hi:[1,0] neg_lo:[0,1] neg_hi:[0,1]
	s_delay_alu instid0(VALU_DEP_4) | instskip(NEXT) | instid1(VALU_DEP_4)
	v_pk_add_f16 v11, v17, v13 op_sel:[0,1] op_sel_hi:[1,0] neg_lo:[0,1] neg_hi:[0,1]
	v_pk_add_f16 v0, v0, v13 op_sel:[0,1] op_sel_hi:[1,0] neg_lo:[0,1] neg_hi:[0,1]
	s_delay_alu instid0(VALU_DEP_3) | instskip(NEXT) | instid1(VALU_DEP_2)
	v_bfi_b32 v7, 0xffff, v7, v10
	v_bfi_b32 v0, 0xffff, v11, v0
	ds_store_b32 v41, v7
	ds_store_b32 v9, v0 offset:9600
	ds_load_b32 v0, v34
	ds_load_b32 v7, v9 offset:8960
	;; [unrolled: 27-line block ×5, first 2 shown]
	s_wait_dscnt 0x0
	v_pk_add_f16 v8, v0, v7 neg_lo:[0,1] neg_hi:[0,1]
	v_pk_add_f16 v0, v0, v7
	s_delay_alu instid0(VALU_DEP_1) | instskip(SKIP_1) | instid1(VALU_DEP_2)
	v_bfi_b32 v7, 0xffff, v8, v0
	v_bfi_b32 v0, 0xffff, v0, v8
	v_pk_mul_f16 v7, v7, 0.5 op_sel_hi:[1,0]
	s_delay_alu instid0(VALU_DEP_2) | instskip(SKIP_1) | instid1(VALU_DEP_1)
	v_pk_mul_f16 v0, v0, 0.5 op_sel_hi:[1,0]
	s_wait_loadcnt 0x0
	v_pk_fma_f16 v8, v12, v7, v0 op_sel:[1,0,0]
	v_pk_mul_f16 v10, v12, v7 op_sel_hi:[0,1]
	v_pk_fma_f16 v11, v12, v7, v0 op_sel:[1,0,0] neg_lo:[1,0,0] neg_hi:[1,0,0]
	v_pk_fma_f16 v0, v12, v7, v0 op_sel:[1,0,0] neg_lo:[0,0,1] neg_hi:[0,0,1]
	s_delay_alu instid0(VALU_DEP_3) | instskip(SKIP_1) | instid1(VALU_DEP_4)
	v_pk_add_f16 v7, v8, v10 op_sel:[0,1] op_sel_hi:[1,0]
	v_pk_add_f16 v8, v8, v10 op_sel:[0,1] op_sel_hi:[1,0] neg_lo:[0,1] neg_hi:[0,1]
	v_pk_add_f16 v11, v11, v10 op_sel:[0,1] op_sel_hi:[1,0] neg_lo:[0,1] neg_hi:[0,1]
	s_delay_alu instid0(VALU_DEP_4) | instskip(NEXT) | instid1(VALU_DEP_3)
	v_pk_add_f16 v0, v0, v10 op_sel:[0,1] op_sel_hi:[1,0] neg_lo:[0,1] neg_hi:[0,1]
	v_bfi_b32 v7, 0xffff, v7, v8
	s_delay_alu instid0(VALU_DEP_2)
	v_bfi_b32 v0, 0xffff, v11, v0
	ds_store_b32 v4, v7
	ds_store_b32 v9, v0 offset:7040
	global_wb scope:SCOPE_SE
	s_wait_dscnt 0x0
	s_barrier_signal -1
	s_barrier_wait -1
	global_inv scope:SCOPE_SE
	s_and_saveexec_b32 s0, vcc_lo
	s_cbranch_execz .LBB0_20
; %bb.18:
	v_mul_lo_u32 v0, s3, v5
	v_mul_lo_u32 v7, s2, v6
	v_mad_co_u64_u32 v[5:6], null, s2, v5, 0
	v_mov_b32_e32 v4, 0
	v_lshl_add_u32 v31, v3, 2, 0
	v_add_nc_u32_e32 v21, 0x320, v3
	v_add_nc_u32_e32 v23, 0x3c0, v3
	;; [unrolled: 1-line block ×4, first 2 shown]
	v_add3_u32 v6, v6, v7, v0
	v_add_nc_u32_e32 v7, 0xa0, v3
	v_lshlrev_b64_e32 v[0:1], 2, v[1:2]
	v_lshlrev_b64_e32 v[13:14], 2, v[3:4]
	v_dual_mov_b32 v8, v4 :: v_dual_add_nc_u32 v9, 0x140, v3
	v_lshlrev_b64_e32 v[5:6], 2, v[5:6]
	v_mov_b32_e32 v10, v4
	v_add_nc_u32_e32 v2, 0x400, v31
	v_mov_b32_e32 v18, v4
	ds_load_2addr_b32 v[11:12], v31 offset1:160
	v_mov_b32_e32 v22, v4
	v_add_co_u32 v15, vcc_lo, s6, v5
	s_wait_alu 0xfffd
	v_add_co_ci_u32_e32 v16, vcc_lo, s7, v6, vcc_lo
	v_lshlrev_b64_e32 v[5:6], 2, v[7:8]
	s_delay_alu instid0(VALU_DEP_3) | instskip(SKIP_1) | instid1(VALU_DEP_3)
	v_add_co_u32 v0, vcc_lo, v15, v0
	s_wait_alu 0xfffd
	v_add_co_ci_u32_e32 v1, vcc_lo, v16, v1, vcc_lo
	v_lshlrev_b64_e32 v[7:8], 2, v[9:10]
	s_delay_alu instid0(VALU_DEP_3) | instskip(SKIP_1) | instid1(VALU_DEP_3)
	v_add_co_u32 v9, vcc_lo, v0, v13
	s_wait_alu 0xfffd
	v_add_co_ci_u32_e32 v10, vcc_lo, v1, v14, vcc_lo
	v_dual_mov_b32 v14, v4 :: v_dual_add_nc_u32 v13, 0x1e0, v3
	v_add_nc_u32_e32 v17, 0x280, v3
	ds_load_2addr_b32 v[15:16], v2 offset0:64 offset1:224
	v_add_nc_u32_e32 v2, 0xa00, v31
	v_add_co_u32 v5, vcc_lo, v0, v5
	v_lshlrev_b64_e32 v[13:14], 2, v[13:14]
	s_wait_alu 0xfffd
	v_add_co_ci_u32_e32 v6, vcc_lo, v1, v6, vcc_lo
	ds_load_2addr_b32 v[19:20], v2 offset1:160
	v_add_nc_u32_e32 v2, 0xe00, v31
	v_add_co_u32 v7, vcc_lo, v0, v7
	v_lshlrev_b64_e32 v[17:18], 2, v[17:18]
	v_mov_b32_e32 v24, v4
	s_wait_alu 0xfffd
	v_add_co_ci_u32_e32 v8, vcc_lo, v1, v8, vcc_lo
	v_add_co_u32 v13, vcc_lo, v0, v13
	v_lshlrev_b64_e32 v[21:22], 2, v[21:22]
	ds_load_2addr_b32 v[25:26], v2 offset0:64 offset1:224
	v_mov_b32_e32 v28, v4
	s_wait_alu 0xfffd
	v_add_co_ci_u32_e32 v14, vcc_lo, v1, v14, vcc_lo
	v_add_co_u32 v17, vcc_lo, v0, v17
	v_lshlrev_b64_e32 v[23:24], 2, v[23:24]
	s_wait_alu 0xfffd
	v_add_co_ci_u32_e32 v18, vcc_lo, v1, v18, vcc_lo
	v_add_co_u32 v21, vcc_lo, v0, v21
	v_lshlrev_b64_e32 v[27:28], 2, v[27:28]
	s_wait_alu 0xfffd
	v_add_co_ci_u32_e32 v22, vcc_lo, v1, v22, vcc_lo
	v_add_co_u32 v23, vcc_lo, v0, v23
	s_wait_alu 0xfffd
	v_add_co_ci_u32_e32 v24, vcc_lo, v1, v24, vcc_lo
	v_mov_b32_e32 v30, v4
	v_add_nc_u32_e32 v2, 0x1400, v31
	v_add_co_u32 v27, vcc_lo, v0, v27
	s_wait_alu 0xfffd
	v_add_co_ci_u32_e32 v28, vcc_lo, v1, v28, vcc_lo
	s_wait_dscnt 0x3
	s_clause 0x1
	global_store_b32 v[9:10], v11, off
	global_store_b32 v[5:6], v12, off
	s_wait_dscnt 0x2
	s_clause 0x1
	global_store_b32 v[7:8], v15, off
	global_store_b32 v[13:14], v16, off
	;; [unrolled: 4-line block ×4, first 2 shown]
	v_dual_mov_b32 v10, v4 :: v_dual_add_nc_u32 v9, 0x5a0, v3
	v_add_nc_u32_e32 v11, 0x640, v3
	ds_load_2addr_b32 v[5:6], v2 offset1:160
	v_lshlrev_b64_e32 v[7:8], 2, v[29:30]
	v_add_nc_u32_e32 v2, 0x1800, v31
	v_dual_mov_b32 v12, v4 :: v_dual_add_nc_u32 v13, 0x6e0, v3
	v_lshlrev_b64_e32 v[9:10], 2, v[9:10]
	v_dual_mov_b32 v14, v4 :: v_dual_add_nc_u32 v17, 0x780, v3
	ds_load_2addr_b32 v[15:16], v2 offset0:64 offset1:224
	v_add_nc_u32_e32 v2, 0x1e00, v31
	v_add_co_u32 v7, vcc_lo, v0, v7
	v_lshlrev_b64_e32 v[11:12], 2, v[11:12]
	v_dual_mov_b32 v18, v4 :: v_dual_add_nc_u32 v21, 0x820, v3
	s_wait_alu 0xfffd
	v_add_co_ci_u32_e32 v8, vcc_lo, v1, v8, vcc_lo
	v_add_co_u32 v9, vcc_lo, v0, v9
	v_lshlrev_b64_e32 v[13:14], 2, v[13:14]
	ds_load_2addr_b32 v[19:20], v2 offset1:160
	v_dual_mov_b32 v22, v4 :: v_dual_add_nc_u32 v23, 0x8c0, v3
	v_add_nc_u32_e32 v2, 0x2200, v31
	s_wait_alu 0xfffd
	v_add_co_ci_u32_e32 v10, vcc_lo, v1, v10, vcc_lo
	v_add_co_u32 v11, vcc_lo, v0, v11
	v_lshlrev_b64_e32 v[17:18], 2, v[17:18]
	v_dual_mov_b32 v24, v4 :: v_dual_add_nc_u32 v27, 0x960, v3
	s_wait_alu 0xfffd
	v_add_co_ci_u32_e32 v12, vcc_lo, v1, v12, vcc_lo
	v_add_co_u32 v13, vcc_lo, v0, v13
	v_lshlrev_b64_e32 v[21:22], 2, v[21:22]
	ds_load_2addr_b32 v[25:26], v2 offset0:64 offset1:224
	v_dual_mov_b32 v28, v4 :: v_dual_add_nc_u32 v29, 0xa00, v3
	s_wait_alu 0xfffd
	v_add_co_ci_u32_e32 v14, vcc_lo, v1, v14, vcc_lo
	v_add_co_u32 v17, vcc_lo, v0, v17
	v_lshlrev_b64_e32 v[23:24], 2, v[23:24]
	s_wait_alu 0xfffd
	v_add_co_ci_u32_e32 v18, vcc_lo, v1, v18, vcc_lo
	v_add_co_u32 v21, vcc_lo, v0, v21
	v_lshlrev_b64_e32 v[27:28], 2, v[27:28]
	s_wait_alu 0xfffd
	v_add_co_ci_u32_e32 v22, vcc_lo, v1, v22, vcc_lo
	v_add_co_u32 v23, vcc_lo, v0, v23
	s_wait_alu 0xfffd
	v_add_co_ci_u32_e32 v24, vcc_lo, v1, v24, vcc_lo
	v_add_nc_u32_e32 v2, 0x2800, v31
	v_add_co_u32 v27, vcc_lo, v0, v27
	s_wait_alu 0xfffd
	v_add_co_ci_u32_e32 v28, vcc_lo, v1, v28, vcc_lo
	s_wait_dscnt 0x3
	s_clause 0x1
	global_store_b32 v[7:8], v5, off
	global_store_b32 v[9:10], v6, off
	s_wait_dscnt 0x2
	s_clause 0x1
	global_store_b32 v[11:12], v15, off
	global_store_b32 v[13:14], v16, off
	;; [unrolled: 4-line block ×4, first 2 shown]
	v_dual_mov_b32 v10, v4 :: v_dual_add_nc_u32 v9, 0xaa0, v3
	ds_load_2addr_b32 v[5:6], v2 offset1:160
	v_lshlrev_b64_e32 v[7:8], 2, v[29:30]
	v_add_nc_u32_e32 v2, 0x2c00, v31
	v_dual_mov_b32 v12, v4 :: v_dual_add_nc_u32 v11, 0xb40, v3
	v_lshlrev_b64_e32 v[9:10], 2, v[9:10]
	v_dual_mov_b32 v16, v4 :: v_dual_add_nc_u32 v15, 0xbe0, v3
	ds_load_2addr_b32 v[13:14], v2 offset0:64 offset1:224
	v_add_co_u32 v7, vcc_lo, v0, v7
	v_lshlrev_b64_e32 v[11:12], 2, v[11:12]
	s_wait_alu 0xfffd
	v_add_co_ci_u32_e32 v8, vcc_lo, v1, v8, vcc_lo
	v_add_co_u32 v9, vcc_lo, v0, v9
	v_lshlrev_b64_e32 v[15:16], 2, v[15:16]
	s_wait_alu 0xfffd
	v_add_co_ci_u32_e32 v10, vcc_lo, v1, v10, vcc_lo
	v_add_co_u32 v11, vcc_lo, v0, v11
	s_wait_alu 0xfffd
	v_add_co_ci_u32_e32 v12, vcc_lo, v1, v12, vcc_lo
	v_add_co_u32 v15, vcc_lo, v0, v15
	s_wait_alu 0xfffd
	v_add_co_ci_u32_e32 v16, vcc_lo, v1, v16, vcc_lo
	v_cmp_eq_u32_e32 vcc_lo, 0x9f, v3
	s_wait_dscnt 0x1
	s_clause 0x1
	global_store_b32 v[7:8], v5, off
	global_store_b32 v[9:10], v6, off
	s_wait_dscnt 0x0
	s_clause 0x1
	global_store_b32 v[11:12], v13, off
	global_store_b32 v[15:16], v14, off
	s_and_b32 exec_lo, exec_lo, vcc_lo
	s_cbranch_execz .LBB0_20
; %bb.19:
	ds_load_b32 v2, v4 offset:12800
	s_wait_dscnt 0x0
	global_store_b32 v[0:1], v2, off offset:12800
.LBB0_20:
	s_nop 0
	s_sendmsg sendmsg(MSG_DEALLOC_VGPRS)
	s_endpgm
	.section	.rodata,"a",@progbits
	.p2align	6, 0x0
	.amdhsa_kernel fft_rtc_back_len3200_factors_10_10_4_4_2_wgs_160_tpt_160_halfLds_half_op_CI_CI_unitstride_sbrr_R2C_dirReg
		.amdhsa_group_segment_fixed_size 0
		.amdhsa_private_segment_fixed_size 0
		.amdhsa_kernarg_size 104
		.amdhsa_user_sgpr_count 2
		.amdhsa_user_sgpr_dispatch_ptr 0
		.amdhsa_user_sgpr_queue_ptr 0
		.amdhsa_user_sgpr_kernarg_segment_ptr 1
		.amdhsa_user_sgpr_dispatch_id 0
		.amdhsa_user_sgpr_private_segment_size 0
		.amdhsa_wavefront_size32 1
		.amdhsa_uses_dynamic_stack 0
		.amdhsa_enable_private_segment 0
		.amdhsa_system_sgpr_workgroup_id_x 1
		.amdhsa_system_sgpr_workgroup_id_y 0
		.amdhsa_system_sgpr_workgroup_id_z 0
		.amdhsa_system_sgpr_workgroup_info 0
		.amdhsa_system_vgpr_workitem_id 0
		.amdhsa_next_free_vgpr 93
		.amdhsa_next_free_sgpr 39
		.amdhsa_reserve_vcc 1
		.amdhsa_float_round_mode_32 0
		.amdhsa_float_round_mode_16_64 0
		.amdhsa_float_denorm_mode_32 3
		.amdhsa_float_denorm_mode_16_64 3
		.amdhsa_fp16_overflow 0
		.amdhsa_workgroup_processor_mode 1
		.amdhsa_memory_ordered 1
		.amdhsa_forward_progress 0
		.amdhsa_round_robin_scheduling 0
		.amdhsa_exception_fp_ieee_invalid_op 0
		.amdhsa_exception_fp_denorm_src 0
		.amdhsa_exception_fp_ieee_div_zero 0
		.amdhsa_exception_fp_ieee_overflow 0
		.amdhsa_exception_fp_ieee_underflow 0
		.amdhsa_exception_fp_ieee_inexact 0
		.amdhsa_exception_int_div_zero 0
	.end_amdhsa_kernel
	.text
.Lfunc_end0:
	.size	fft_rtc_back_len3200_factors_10_10_4_4_2_wgs_160_tpt_160_halfLds_half_op_CI_CI_unitstride_sbrr_R2C_dirReg, .Lfunc_end0-fft_rtc_back_len3200_factors_10_10_4_4_2_wgs_160_tpt_160_halfLds_half_op_CI_CI_unitstride_sbrr_R2C_dirReg
                                        ; -- End function
	.section	.AMDGPU.csdata,"",@progbits
; Kernel info:
; codeLenInByte = 15888
; NumSgprs: 41
; NumVgprs: 93
; ScratchSize: 0
; MemoryBound: 0
; FloatMode: 240
; IeeeMode: 1
; LDSByteSize: 0 bytes/workgroup (compile time only)
; SGPRBlocks: 5
; VGPRBlocks: 11
; NumSGPRsForWavesPerEU: 41
; NumVGPRsForWavesPerEU: 93
; Occupancy: 15
; WaveLimiterHint : 1
; COMPUTE_PGM_RSRC2:SCRATCH_EN: 0
; COMPUTE_PGM_RSRC2:USER_SGPR: 2
; COMPUTE_PGM_RSRC2:TRAP_HANDLER: 0
; COMPUTE_PGM_RSRC2:TGID_X_EN: 1
; COMPUTE_PGM_RSRC2:TGID_Y_EN: 0
; COMPUTE_PGM_RSRC2:TGID_Z_EN: 0
; COMPUTE_PGM_RSRC2:TIDIG_COMP_CNT: 0
	.text
	.p2alignl 7, 3214868480
	.fill 96, 4, 3214868480
	.type	__hip_cuid_adc792c5440a1c41,@object ; @__hip_cuid_adc792c5440a1c41
	.section	.bss,"aw",@nobits
	.globl	__hip_cuid_adc792c5440a1c41
__hip_cuid_adc792c5440a1c41:
	.byte	0                               ; 0x0
	.size	__hip_cuid_adc792c5440a1c41, 1

	.ident	"AMD clang version 19.0.0git (https://github.com/RadeonOpenCompute/llvm-project roc-6.4.0 25133 c7fe45cf4b819c5991fe208aaa96edf142730f1d)"
	.section	".note.GNU-stack","",@progbits
	.addrsig
	.addrsig_sym __hip_cuid_adc792c5440a1c41
	.amdgpu_metadata
---
amdhsa.kernels:
  - .args:
      - .actual_access:  read_only
        .address_space:  global
        .offset:         0
        .size:           8
        .value_kind:     global_buffer
      - .offset:         8
        .size:           8
        .value_kind:     by_value
      - .actual_access:  read_only
        .address_space:  global
        .offset:         16
        .size:           8
        .value_kind:     global_buffer
      - .actual_access:  read_only
        .address_space:  global
        .offset:         24
        .size:           8
        .value_kind:     global_buffer
      - .actual_access:  read_only
        .address_space:  global
        .offset:         32
        .size:           8
        .value_kind:     global_buffer
      - .offset:         40
        .size:           8
        .value_kind:     by_value
      - .actual_access:  read_only
        .address_space:  global
        .offset:         48
        .size:           8
        .value_kind:     global_buffer
      - .actual_access:  read_only
        .address_space:  global
        .offset:         56
        .size:           8
        .value_kind:     global_buffer
      - .offset:         64
        .size:           4
        .value_kind:     by_value
      - .actual_access:  read_only
        .address_space:  global
        .offset:         72
        .size:           8
        .value_kind:     global_buffer
      - .actual_access:  read_only
        .address_space:  global
        .offset:         80
        .size:           8
        .value_kind:     global_buffer
      - .actual_access:  read_only
        .address_space:  global
        .offset:         88
        .size:           8
        .value_kind:     global_buffer
      - .actual_access:  write_only
        .address_space:  global
        .offset:         96
        .size:           8
        .value_kind:     global_buffer
    .group_segment_fixed_size: 0
    .kernarg_segment_align: 8
    .kernarg_segment_size: 104
    .language:       OpenCL C
    .language_version:
      - 2
      - 0
    .max_flat_workgroup_size: 160
    .name:           fft_rtc_back_len3200_factors_10_10_4_4_2_wgs_160_tpt_160_halfLds_half_op_CI_CI_unitstride_sbrr_R2C_dirReg
    .private_segment_fixed_size: 0
    .sgpr_count:     41
    .sgpr_spill_count: 0
    .symbol:         fft_rtc_back_len3200_factors_10_10_4_4_2_wgs_160_tpt_160_halfLds_half_op_CI_CI_unitstride_sbrr_R2C_dirReg.kd
    .uniform_work_group_size: 1
    .uses_dynamic_stack: false
    .vgpr_count:     93
    .vgpr_spill_count: 0
    .wavefront_size: 32
    .workgroup_processor_mode: 1
amdhsa.target:   amdgcn-amd-amdhsa--gfx1201
amdhsa.version:
  - 1
  - 2
...

	.end_amdgpu_metadata
